;; amdgpu-corpus repo=ROCm/rocFFT kind=compiled arch=gfx1100 opt=O3
	.text
	.amdgcn_target "amdgcn-amd-amdhsa--gfx1100"
	.amdhsa_code_object_version 6
	.protected	fft_rtc_fwd_len663_factors_17_13_3_wgs_51_tpt_51_half_op_CI_CI_sbrr_dirReg ; -- Begin function fft_rtc_fwd_len663_factors_17_13_3_wgs_51_tpt_51_half_op_CI_CI_sbrr_dirReg
	.globl	fft_rtc_fwd_len663_factors_17_13_3_wgs_51_tpt_51_half_op_CI_CI_sbrr_dirReg
	.p2align	8
	.type	fft_rtc_fwd_len663_factors_17_13_3_wgs_51_tpt_51_half_op_CI_CI_sbrr_dirReg,@function
fft_rtc_fwd_len663_factors_17_13_3_wgs_51_tpt_51_half_op_CI_CI_sbrr_dirReg: ; @fft_rtc_fwd_len663_factors_17_13_3_wgs_51_tpt_51_half_op_CI_CI_sbrr_dirReg
; %bb.0:
	s_clause 0x2
	s_load_b128 s[16:19], s[0:1], 0x18
	s_load_b128 s[4:7], s[0:1], 0x0
	;; [unrolled: 1-line block ×3, first 2 shown]
	v_mul_u32_u24_e32 v1, 0x506, v0
	v_mov_b32_e32 v7, 0
	v_mov_b32_e32 v5, 0
	;; [unrolled: 1-line block ×3, first 2 shown]
	s_waitcnt lgkmcnt(0)
	s_load_b64 s[20:21], s[16:17], 0x0
	s_load_b64 s[12:13], s[18:19], 0x0
	v_lshrrev_b32_e32 v1, 16, v1
	v_cmp_lt_u64_e64 s2, s[6:7], 2
	s_delay_alu instid0(VALU_DEP_2) | instskip(NEXT) | instid1(VALU_DEP_2)
	v_dual_mov_b32 v10, v7 :: v_dual_add_nc_u32 v9, s15, v1
	s_and_b32 vcc_lo, exec_lo, s2
	s_cbranch_vccnz .LBB0_8
; %bb.1:
	s_load_b64 s[2:3], s[0:1], 0x10
	v_mov_b32_e32 v5, 0
	v_mov_b32_e32 v6, 0
	s_add_u32 s14, s18, 8
	s_addc_u32 s15, s19, 0
	s_add_u32 s22, s16, 8
	s_delay_alu instid0(VALU_DEP_1)
	v_dual_mov_b32 v1, v5 :: v_dual_mov_b32 v2, v6
	s_addc_u32 s23, s17, 0
	s_mov_b64 s[26:27], 1
	s_waitcnt lgkmcnt(0)
	s_add_u32 s24, s2, 8
	s_addc_u32 s25, s3, 0
.LBB0_2:                                ; =>This Inner Loop Header: Depth=1
	s_load_b64 s[28:29], s[24:25], 0x0
                                        ; implicit-def: $vgpr3_vgpr4
	s_mov_b32 s2, exec_lo
	s_waitcnt lgkmcnt(0)
	v_or_b32_e32 v8, s29, v10
	s_delay_alu instid0(VALU_DEP_1)
	v_cmpx_ne_u64_e32 0, v[7:8]
	s_xor_b32 s3, exec_lo, s2
	s_cbranch_execz .LBB0_4
; %bb.3:                                ;   in Loop: Header=BB0_2 Depth=1
	v_cvt_f32_u32_e32 v3, s28
	v_cvt_f32_u32_e32 v4, s29
	s_sub_u32 s2, 0, s28
	s_subb_u32 s30, 0, s29
	s_delay_alu instid0(VALU_DEP_1) | instskip(NEXT) | instid1(VALU_DEP_1)
	v_fmac_f32_e32 v3, 0x4f800000, v4
	v_rcp_f32_e32 v3, v3
	s_waitcnt_depctr 0xfff
	v_mul_f32_e32 v3, 0x5f7ffffc, v3
	s_delay_alu instid0(VALU_DEP_1) | instskip(NEXT) | instid1(VALU_DEP_1)
	v_mul_f32_e32 v4, 0x2f800000, v3
	v_trunc_f32_e32 v4, v4
	s_delay_alu instid0(VALU_DEP_1) | instskip(SKIP_1) | instid1(VALU_DEP_2)
	v_fmac_f32_e32 v3, 0xcf800000, v4
	v_cvt_u32_f32_e32 v4, v4
	v_cvt_u32_f32_e32 v3, v3
	s_delay_alu instid0(VALU_DEP_2) | instskip(NEXT) | instid1(VALU_DEP_2)
	v_mul_lo_u32 v8, s2, v4
	v_mul_hi_u32 v11, s2, v3
	v_mul_lo_u32 v12, s30, v3
	s_delay_alu instid0(VALU_DEP_2) | instskip(SKIP_1) | instid1(VALU_DEP_2)
	v_add_nc_u32_e32 v8, v11, v8
	v_mul_lo_u32 v11, s2, v3
	v_add_nc_u32_e32 v8, v8, v12
	s_delay_alu instid0(VALU_DEP_2) | instskip(NEXT) | instid1(VALU_DEP_2)
	v_mul_hi_u32 v12, v3, v11
	v_mul_lo_u32 v13, v3, v8
	v_mul_hi_u32 v14, v3, v8
	v_mul_hi_u32 v15, v4, v11
	v_mul_lo_u32 v11, v4, v11
	v_mul_hi_u32 v16, v4, v8
	v_mul_lo_u32 v8, v4, v8
	v_add_co_u32 v12, vcc_lo, v12, v13
	v_add_co_ci_u32_e32 v13, vcc_lo, 0, v14, vcc_lo
	s_delay_alu instid0(VALU_DEP_2) | instskip(NEXT) | instid1(VALU_DEP_2)
	v_add_co_u32 v11, vcc_lo, v12, v11
	v_add_co_ci_u32_e32 v11, vcc_lo, v13, v15, vcc_lo
	v_add_co_ci_u32_e32 v12, vcc_lo, 0, v16, vcc_lo
	s_delay_alu instid0(VALU_DEP_2) | instskip(NEXT) | instid1(VALU_DEP_2)
	v_add_co_u32 v8, vcc_lo, v11, v8
	v_add_co_ci_u32_e32 v11, vcc_lo, 0, v12, vcc_lo
	s_delay_alu instid0(VALU_DEP_2) | instskip(NEXT) | instid1(VALU_DEP_2)
	v_add_co_u32 v3, vcc_lo, v3, v8
	v_add_co_ci_u32_e32 v4, vcc_lo, v4, v11, vcc_lo
	s_delay_alu instid0(VALU_DEP_2) | instskip(SKIP_1) | instid1(VALU_DEP_3)
	v_mul_hi_u32 v8, s2, v3
	v_mul_lo_u32 v12, s30, v3
	v_mul_lo_u32 v11, s2, v4
	s_delay_alu instid0(VALU_DEP_1) | instskip(SKIP_1) | instid1(VALU_DEP_2)
	v_add_nc_u32_e32 v8, v8, v11
	v_mul_lo_u32 v11, s2, v3
	v_add_nc_u32_e32 v8, v8, v12
	s_delay_alu instid0(VALU_DEP_2) | instskip(NEXT) | instid1(VALU_DEP_2)
	v_mul_hi_u32 v12, v3, v11
	v_mul_lo_u32 v13, v3, v8
	v_mul_hi_u32 v14, v3, v8
	v_mul_hi_u32 v15, v4, v11
	v_mul_lo_u32 v11, v4, v11
	v_mul_hi_u32 v16, v4, v8
	v_mul_lo_u32 v8, v4, v8
	v_add_co_u32 v12, vcc_lo, v12, v13
	v_add_co_ci_u32_e32 v13, vcc_lo, 0, v14, vcc_lo
	s_delay_alu instid0(VALU_DEP_2) | instskip(NEXT) | instid1(VALU_DEP_2)
	v_add_co_u32 v11, vcc_lo, v12, v11
	v_add_co_ci_u32_e32 v11, vcc_lo, v13, v15, vcc_lo
	v_add_co_ci_u32_e32 v12, vcc_lo, 0, v16, vcc_lo
	s_delay_alu instid0(VALU_DEP_2) | instskip(NEXT) | instid1(VALU_DEP_2)
	v_add_co_u32 v8, vcc_lo, v11, v8
	v_add_co_ci_u32_e32 v11, vcc_lo, 0, v12, vcc_lo
	s_delay_alu instid0(VALU_DEP_2) | instskip(NEXT) | instid1(VALU_DEP_2)
	v_add_co_u32 v8, vcc_lo, v3, v8
	v_add_co_ci_u32_e32 v15, vcc_lo, v4, v11, vcc_lo
	s_delay_alu instid0(VALU_DEP_2) | instskip(SKIP_1) | instid1(VALU_DEP_3)
	v_mul_hi_u32 v16, v9, v8
	v_mad_u64_u32 v[11:12], null, v10, v8, 0
	v_mad_u64_u32 v[3:4], null, v9, v15, 0
	;; [unrolled: 1-line block ×3, first 2 shown]
	s_delay_alu instid0(VALU_DEP_2) | instskip(NEXT) | instid1(VALU_DEP_3)
	v_add_co_u32 v3, vcc_lo, v16, v3
	v_add_co_ci_u32_e32 v4, vcc_lo, 0, v4, vcc_lo
	s_delay_alu instid0(VALU_DEP_2) | instskip(NEXT) | instid1(VALU_DEP_2)
	v_add_co_u32 v3, vcc_lo, v3, v11
	v_add_co_ci_u32_e32 v3, vcc_lo, v4, v12, vcc_lo
	v_add_co_ci_u32_e32 v4, vcc_lo, 0, v14, vcc_lo
	s_delay_alu instid0(VALU_DEP_2) | instskip(NEXT) | instid1(VALU_DEP_2)
	v_add_co_u32 v8, vcc_lo, v3, v13
	v_add_co_ci_u32_e32 v11, vcc_lo, 0, v4, vcc_lo
	s_delay_alu instid0(VALU_DEP_2) | instskip(SKIP_1) | instid1(VALU_DEP_3)
	v_mul_lo_u32 v12, s29, v8
	v_mad_u64_u32 v[3:4], null, s28, v8, 0
	v_mul_lo_u32 v13, s28, v11
	s_delay_alu instid0(VALU_DEP_2) | instskip(NEXT) | instid1(VALU_DEP_2)
	v_sub_co_u32 v3, vcc_lo, v9, v3
	v_add3_u32 v4, v4, v13, v12
	s_delay_alu instid0(VALU_DEP_1) | instskip(NEXT) | instid1(VALU_DEP_1)
	v_sub_nc_u32_e32 v12, v10, v4
	v_subrev_co_ci_u32_e64 v12, s2, s29, v12, vcc_lo
	v_add_co_u32 v13, s2, v8, 2
	s_delay_alu instid0(VALU_DEP_1) | instskip(SKIP_3) | instid1(VALU_DEP_3)
	v_add_co_ci_u32_e64 v14, s2, 0, v11, s2
	v_sub_co_u32 v15, s2, v3, s28
	v_sub_co_ci_u32_e32 v4, vcc_lo, v10, v4, vcc_lo
	v_subrev_co_ci_u32_e64 v12, s2, 0, v12, s2
	v_cmp_le_u32_e32 vcc_lo, s28, v15
	s_delay_alu instid0(VALU_DEP_3) | instskip(SKIP_1) | instid1(VALU_DEP_4)
	v_cmp_eq_u32_e64 s2, s29, v4
	v_cndmask_b32_e64 v15, 0, -1, vcc_lo
	v_cmp_le_u32_e32 vcc_lo, s29, v12
	v_cndmask_b32_e64 v16, 0, -1, vcc_lo
	v_cmp_le_u32_e32 vcc_lo, s28, v3
	;; [unrolled: 2-line block ×3, first 2 shown]
	v_cndmask_b32_e64 v17, 0, -1, vcc_lo
	v_cmp_eq_u32_e32 vcc_lo, s29, v12
	s_delay_alu instid0(VALU_DEP_2) | instskip(SKIP_3) | instid1(VALU_DEP_3)
	v_cndmask_b32_e64 v3, v17, v3, s2
	v_cndmask_b32_e32 v12, v16, v15, vcc_lo
	v_add_co_u32 v15, vcc_lo, v8, 1
	v_add_co_ci_u32_e32 v16, vcc_lo, 0, v11, vcc_lo
	v_cmp_ne_u32_e32 vcc_lo, 0, v12
	s_delay_alu instid0(VALU_DEP_2) | instskip(NEXT) | instid1(VALU_DEP_4)
	v_cndmask_b32_e32 v4, v16, v14, vcc_lo
	v_cndmask_b32_e32 v12, v15, v13, vcc_lo
	v_cmp_ne_u32_e32 vcc_lo, 0, v3
	s_delay_alu instid0(VALU_DEP_3) | instskip(NEXT) | instid1(VALU_DEP_3)
	v_cndmask_b32_e32 v4, v11, v4, vcc_lo
	v_cndmask_b32_e32 v3, v8, v12, vcc_lo
.LBB0_4:                                ;   in Loop: Header=BB0_2 Depth=1
	s_and_not1_saveexec_b32 s2, s3
	s_cbranch_execz .LBB0_6
; %bb.5:                                ;   in Loop: Header=BB0_2 Depth=1
	v_cvt_f32_u32_e32 v3, s28
	s_sub_i32 s3, 0, s28
	s_delay_alu instid0(VALU_DEP_1) | instskip(SKIP_2) | instid1(VALU_DEP_1)
	v_rcp_iflag_f32_e32 v3, v3
	s_waitcnt_depctr 0xfff
	v_mul_f32_e32 v3, 0x4f7ffffe, v3
	v_cvt_u32_f32_e32 v3, v3
	s_delay_alu instid0(VALU_DEP_1) | instskip(NEXT) | instid1(VALU_DEP_1)
	v_mul_lo_u32 v4, s3, v3
	v_mul_hi_u32 v4, v3, v4
	s_delay_alu instid0(VALU_DEP_1) | instskip(NEXT) | instid1(VALU_DEP_1)
	v_add_nc_u32_e32 v3, v3, v4
	v_mul_hi_u32 v3, v9, v3
	s_delay_alu instid0(VALU_DEP_1) | instskip(SKIP_1) | instid1(VALU_DEP_2)
	v_mul_lo_u32 v4, v3, s28
	v_add_nc_u32_e32 v8, 1, v3
	v_sub_nc_u32_e32 v4, v9, v4
	s_delay_alu instid0(VALU_DEP_1) | instskip(SKIP_1) | instid1(VALU_DEP_2)
	v_subrev_nc_u32_e32 v11, s28, v4
	v_cmp_le_u32_e32 vcc_lo, s28, v4
	v_dual_cndmask_b32 v4, v4, v11 :: v_dual_cndmask_b32 v3, v3, v8
	s_delay_alu instid0(VALU_DEP_1) | instskip(NEXT) | instid1(VALU_DEP_2)
	v_cmp_le_u32_e32 vcc_lo, s28, v4
	v_add_nc_u32_e32 v8, 1, v3
	v_mov_b32_e32 v4, v7
	s_delay_alu instid0(VALU_DEP_2)
	v_cndmask_b32_e32 v3, v3, v8, vcc_lo
.LBB0_6:                                ;   in Loop: Header=BB0_2 Depth=1
	s_or_b32 exec_lo, exec_lo, s2
	s_delay_alu instid0(VALU_DEP_2) | instskip(NEXT) | instid1(VALU_DEP_2)
	v_mul_lo_u32 v8, v4, s28
	v_mul_lo_u32 v13, v3, s29
	s_load_b64 s[2:3], s[22:23], 0x0
	v_mad_u64_u32 v[11:12], null, v3, s28, 0
	s_load_b64 s[28:29], s[14:15], 0x0
	s_add_u32 s26, s26, 1
	s_addc_u32 s27, s27, 0
	s_add_u32 s14, s14, 8
	s_addc_u32 s15, s15, 0
	s_add_u32 s22, s22, 8
	s_delay_alu instid0(VALU_DEP_1) | instskip(SKIP_3) | instid1(VALU_DEP_2)
	v_add3_u32 v8, v12, v13, v8
	v_sub_co_u32 v12, vcc_lo, v9, v11
	s_addc_u32 s23, s23, 0
	s_add_u32 s24, s24, 8
	v_sub_co_ci_u32_e32 v10, vcc_lo, v10, v8, vcc_lo
	s_addc_u32 s25, s25, 0
	s_waitcnt lgkmcnt(0)
	s_delay_alu instid0(VALU_DEP_1)
	v_mul_lo_u32 v13, s2, v10
	v_mul_lo_u32 v14, s3, v12
	v_mad_u64_u32 v[8:9], null, s2, v12, v[5:6]
	v_mul_lo_u32 v15, s28, v10
	v_mul_lo_u32 v16, s29, v12
	v_mad_u64_u32 v[10:11], null, s28, v12, v[1:2]
	v_cmp_ge_u64_e64 s2, s[26:27], s[6:7]
	v_add3_u32 v6, v14, v9, v13
	v_mov_b32_e32 v5, v8
	s_delay_alu instid0(VALU_DEP_4)
	v_add3_u32 v2, v16, v11, v15
	v_mov_b32_e32 v1, v10
	s_and_b32 vcc_lo, exec_lo, s2
	s_cbranch_vccnz .LBB0_9
; %bb.7:                                ;   in Loop: Header=BB0_2 Depth=1
	v_dual_mov_b32 v10, v4 :: v_dual_mov_b32 v9, v3
	s_branch .LBB0_2
.LBB0_8:
	v_dual_mov_b32 v1, v5 :: v_dual_mov_b32 v2, v6
	s_delay_alu instid0(VALU_DEP_2)
	v_dual_mov_b32 v3, v9 :: v_dual_mov_b32 v4, v10
.LBB0_9:
	s_load_b64 s[0:1], s[0:1], 0x28
	v_mul_hi_u32 v7, 0x5050506, v0
	s_lshl_b64 s[6:7], s[6:7], 3
	v_mov_b32_e32 v16, 0
	s_add_u32 s2, s18, s6
	s_addc_u32 s3, s19, s7
                                        ; implicit-def: $vgpr42
                                        ; implicit-def: $vgpr13
                                        ; implicit-def: $vgpr41
                                        ; implicit-def: $vgpr12
                                        ; implicit-def: $vgpr40
                                        ; implicit-def: $vgpr11
                                        ; implicit-def: $vgpr38
                                        ; implicit-def: $vgpr10
                                        ; implicit-def: $vgpr36
                                        ; implicit-def: $vgpr9
                                        ; implicit-def: $vgpr35
                                        ; implicit-def: $vgpr8
                                        ; implicit-def: $vgpr34
                                        ; implicit-def: $vgpr33
                                        ; implicit-def: $vgpr30
                                        ; implicit-def: $vgpr18
                                        ; implicit-def: $vgpr14
                                        ; implicit-def: $vgpr20
                                        ; implicit-def: $vgpr15
                                        ; implicit-def: $vgpr25
                                        ; implicit-def: $vgpr17
                                        ; implicit-def: $vgpr27
                                        ; implicit-def: $vgpr19
                                        ; implicit-def: $vgpr28
                                        ; implicit-def: $vgpr24
                                        ; implicit-def: $vgpr29
                                        ; implicit-def: $vgpr26
                                        ; implicit-def: $vgpr37
                                        ; implicit-def: $vgpr31
                                        ; implicit-def: $vgpr39
                                        ; implicit-def: $vgpr32
	s_delay_alu instid0(VALU_DEP_2) | instskip(NEXT) | instid1(VALU_DEP_1)
	v_mul_u32_u24_e32 v7, 51, v7
	v_sub_nc_u32_e32 v0, v0, v7
                                        ; implicit-def: $vgpr7
	s_waitcnt lgkmcnt(0)
	v_cmp_gt_u64_e32 vcc_lo, s[0:1], v[3:4]
	s_delay_alu instid0(VALU_DEP_2) | instskip(NEXT) | instid1(VALU_DEP_1)
	v_cmp_gt_u32_e64 s0, 39, v0
	s_and_b32 s1, vcc_lo, s0
	s_delay_alu instid0(SALU_CYCLE_1)
	s_and_saveexec_b32 s14, s1
	s_cbranch_execz .LBB0_11
; %bb.10:
	s_add_u32 s6, s16, s6
	s_addc_u32 s7, s17, s7
	v_add_nc_u32_e32 v22, 39, v0
	s_load_b64 s[6:7], s[6:7], 0x0
	v_mad_u64_u32 v[7:8], null, s20, v0, 0
	v_add_nc_u32_e32 v24, 0x75, v0
	s_delay_alu instid0(VALU_DEP_3) | instskip(SKIP_2) | instid1(VALU_DEP_4)
	v_mad_u64_u32 v[9:10], null, s20, v22, 0
	v_add_nc_u32_e32 v23, 0x4e, v0
	v_lshlrev_b64 v[5:6], 2, v[5:6]
	v_mad_u64_u32 v[13:14], null, s20, v24, 0
	v_add_nc_u32_e32 v26, 0x111, v0
	v_add_nc_u32_e32 v32, 0x15f, v0
	v_mad_u64_u32 v[17:18], null, s21, v0, v[8:9]
	v_mov_b32_e32 v8, v10
	v_mad_u64_u32 v[11:12], null, s20, v23, 0
	v_add_nc_u32_e32 v25, 0x9c, v0
	v_add_nc_u32_e32 v34, 0x1ad, v0
	;; [unrolled: 1-line block ×3, first 2 shown]
	s_waitcnt lgkmcnt(0)
	v_mul_lo_u32 v20, s7, v3
	v_mul_lo_u32 v21, s6, v4
	v_mad_u64_u32 v[15:16], null, s6, v3, 0
	v_mov_b32_e32 v10, v12
	v_mov_b32_e32 v12, v14
	v_mad_u64_u32 v[18:19], null, s20, v25, 0
	v_add_nc_u32_e32 v35, 0x222, v0
	v_add3_u32 v16, v16, v21, v20
	v_mad_u64_u32 v[20:21], null, s21, v22, v[8:9]
	v_mov_b32_e32 v8, v17
	v_mad_u64_u32 v[21:22], null, s21, v23, v[10:11]
	s_delay_alu instid0(VALU_DEP_4) | instskip(SKIP_1) | instid1(VALU_DEP_4)
	v_lshlrev_b64 v[14:15], 2, v[15:16]
	v_mad_u64_u32 v[16:17], null, s21, v24, v[12:13]
	v_lshlrev_b64 v[7:8], 2, v[7:8]
	v_mov_b32_e32 v10, v20
	v_add_nc_u32_e32 v22, 0xc3, v0
	v_add_co_u32 v14, s1, s8, v14
	s_delay_alu instid0(VALU_DEP_1) | instskip(SKIP_1) | instid1(VALU_DEP_3)
	v_add_co_ci_u32_e64 v15, s1, s9, v15, s1
	v_mov_b32_e32 v12, v21
	v_add_co_u32 v38, s1, v14, v5
	s_delay_alu instid0(VALU_DEP_1) | instskip(SKIP_1) | instid1(VALU_DEP_3)
	v_add_co_ci_u32_e64 v39, s1, v15, v6, s1
	v_lshlrev_b64 v[5:6], 2, v[9:10]
	v_add_co_u32 v20, s1, v38, v7
	s_delay_alu instid0(VALU_DEP_1)
	v_add_co_ci_u32_e64 v21, s1, v39, v8, s1
	v_lshlrev_b64 v[7:8], 2, v[11:12]
	v_mad_u64_u32 v[10:11], null, s20, v22, 0
	v_dual_mov_b32 v9, v19 :: v_dual_mov_b32 v14, v16
	v_add_nc_u32_e32 v24, 0xea, v0
	v_add_co_u32 v5, s1, v38, v5
	s_delay_alu instid0(VALU_DEP_1) | instskip(NEXT) | instid1(VALU_DEP_4)
	v_add_co_ci_u32_e64 v6, s1, v39, v6, s1
	v_mad_u64_u32 v[15:16], null, s21, v25, v[9:10]
	v_mov_b32_e32 v9, v11
	v_lshlrev_b64 v[12:13], 2, v[13:14]
	v_add_co_u32 v7, s1, v38, v7
	s_delay_alu instid0(VALU_DEP_1) | instskip(SKIP_4) | instid1(VALU_DEP_1)
	v_add_co_ci_u32_e64 v8, s1, v39, v8, s1
	v_mov_b32_e32 v19, v15
	v_mad_u64_u32 v[14:15], null, s20, v24, 0
	v_mad_u64_u32 v[16:17], null, s21, v22, v[9:10]
	v_add_co_u32 v22, s1, v38, v12
	v_add_co_ci_u32_e64 v23, s1, v39, v13, s1
	v_lshlrev_b64 v[12:13], 2, v[18:19]
	v_mad_u64_u32 v[17:18], null, s20, v26, 0
	v_mov_b32_e32 v9, v15
	v_mov_b32_e32 v11, v16
	v_add_nc_u32_e32 v19, 0x138, v0
	s_delay_alu instid0(VALU_DEP_3) | instskip(NEXT) | instid1(VALU_DEP_3)
	v_mad_u64_u32 v[15:16], null, s21, v24, v[9:10]
	v_lshlrev_b64 v[10:11], 2, v[10:11]
	v_mov_b32_e32 v9, v18
	v_add_co_u32 v24, s1, v38, v12
	s_delay_alu instid0(VALU_DEP_1) | instskip(NEXT) | instid1(VALU_DEP_3)
	v_add_co_ci_u32_e64 v25, s1, v39, v13, s1
	v_mad_u64_u32 v[12:13], null, s21, v26, v[9:10]
	v_mad_u64_u32 v[26:27], null, s20, v19, 0
	v_add_co_u32 v28, s1, v38, v10
	s_delay_alu instid0(VALU_DEP_1) | instskip(NEXT) | instid1(VALU_DEP_4)
	v_add_co_ci_u32_e64 v29, s1, v39, v11, s1
	v_mov_b32_e32 v18, v12
	v_lshlrev_b64 v[9:10], 2, v[14:15]
	v_mov_b32_e32 v11, v27
	v_mad_u64_u32 v[14:15], null, s20, v32, 0
	s_delay_alu instid0(VALU_DEP_4) | instskip(NEXT) | instid1(VALU_DEP_1)
	v_lshlrev_b64 v[12:13], 2, v[17:18]
	v_mad_u64_u32 v[16:17], null, s21, v19, v[11:12]
	v_add_nc_u32_e32 v19, 0x186, v0
	v_add_co_u32 v17, s1, v38, v9
	v_mov_b32_e32 v9, v15
	v_add_co_ci_u32_e64 v18, s1, v39, v10, s1
	v_mov_b32_e32 v27, v16
	v_add_co_u32 v30, s1, v38, v12
	s_delay_alu instid0(VALU_DEP_4)
	v_mad_u64_u32 v[15:16], null, s21, v32, v[9:10]
	v_mad_u64_u32 v[32:33], null, s20, v19, 0
	v_add_co_ci_u32_e64 v31, s1, v39, v13, s1
	s_clause 0x6
	global_load_b32 v13, v[5:6], off
	global_load_b32 v12, v[7:8], off
	;; [unrolled: 1-line block ×7, first 2 shown]
	v_mad_u64_u32 v[17:18], null, s20, v34, 0
	v_add_nc_u32_e32 v30, 0x1d4, v0
	v_mov_b32_e32 v16, v33
	v_lshlrev_b64 v[5:6], 2, v[26:27]
	v_lshlrev_b64 v[14:15], 2, v[14:15]
	s_delay_alu instid0(VALU_DEP_3) | instskip(SKIP_1) | instid1(VALU_DEP_4)
	v_mad_u64_u32 v[22:23], null, s21, v19, v[16:17]
	v_mov_b32_e32 v16, v18
	v_add_co_u32 v5, s1, v38, v5
	s_delay_alu instid0(VALU_DEP_1) | instskip(NEXT) | instid1(VALU_DEP_3)
	v_add_co_ci_u32_e64 v6, s1, v39, v6, s1
	v_mad_u64_u32 v[18:19], null, s21, v34, v[16:17]
	v_mov_b32_e32 v33, v22
	v_mad_u64_u32 v[22:23], null, s20, v30, 0
	v_add_nc_u32_e32 v19, 0x1fb, v0
	v_add_co_u32 v14, s1, v38, v14
	s_delay_alu instid0(VALU_DEP_4) | instskip(SKIP_4) | instid1(VALU_DEP_3)
	v_lshlrev_b64 v[24:25], 2, v[32:33]
	v_mad_u64_u32 v[31:32], null, s20, v36, 0
	v_mov_b32_e32 v16, v23
	v_mad_u64_u32 v[26:27], null, s20, v19, 0
	v_add_co_ci_u32_e64 v15, s1, v39, v15, s1
	v_mad_u64_u32 v[28:29], null, s21, v30, v[16:17]
	v_mad_u64_u32 v[29:30], null, s20, v35, 0
	v_lshlrev_b64 v[17:18], 2, v[17:18]
	v_mov_b32_e32 v16, v27
	v_add_co_u32 v24, s1, v38, v24
	v_mov_b32_e32 v23, v28
	v_add_co_ci_u32_e64 v25, s1, v39, v25, s1
	s_delay_alu instid0(VALU_DEP_4) | instskip(SKIP_1) | instid1(VALU_DEP_4)
	v_mad_u64_u32 v[27:28], null, s21, v19, v[16:17]
	v_dual_mov_b32 v16, v30 :: v_dual_add_nc_u32 v19, 0x270, v0
	v_lshlrev_b64 v[22:23], 2, v[22:23]
	s_delay_alu instid0(VALU_DEP_2) | instskip(NEXT) | instid1(VALU_DEP_3)
	v_mad_u64_u32 v[33:34], null, s21, v35, v[16:17]
	v_mad_u64_u32 v[34:35], null, s20, v19, 0
	v_add_co_u32 v16, s1, v38, v17
	s_delay_alu instid0(VALU_DEP_1) | instskip(SKIP_4) | instid1(VALU_DEP_4)
	v_add_co_ci_u32_e64 v17, s1, v39, v18, s1
	v_mov_b32_e32 v18, v32
	v_mov_b32_e32 v30, v33
	v_lshlrev_b64 v[26:27], 2, v[26:27]
	v_add_co_u32 v22, s1, v38, v22
	v_mad_u64_u32 v[32:33], null, s21, v36, v[18:19]
	v_mov_b32_e32 v18, v35
	v_add_co_ci_u32_e64 v23, s1, v39, v23, s1
	v_add_co_u32 v28, s1, v38, v26
	s_delay_alu instid0(VALU_DEP_3) | instskip(SKIP_3) | instid1(VALU_DEP_3)
	v_mad_u64_u32 v[35:36], null, s21, v19, v[18:19]
	v_lshlrev_b64 v[18:19], 2, v[29:30]
	v_add_co_ci_u32_e64 v29, s1, v39, v27, s1
	v_lshlrev_b64 v[26:27], 2, v[31:32]
	v_add_co_u32 v36, s1, v38, v18
	s_delay_alu instid0(VALU_DEP_1) | instskip(SKIP_1) | instid1(VALU_DEP_4)
	v_add_co_ci_u32_e64 v37, s1, v39, v19, s1
	v_lshlrev_b64 v[18:19], 2, v[34:35]
	v_add_co_u32 v33, s1, v38, v26
	s_delay_alu instid0(VALU_DEP_1) | instskip(NEXT) | instid1(VALU_DEP_3)
	v_add_co_ci_u32_e64 v34, s1, v39, v27, s1
	v_add_co_u32 v38, s1, v38, v18
	s_delay_alu instid0(VALU_DEP_1)
	v_add_co_ci_u32_e64 v39, s1, v39, v19, s1
	s_clause 0x9
	global_load_b32 v30, v[5:6], off
	global_load_b32 v32, v[14:15], off
	;; [unrolled: 1-line block ×10, first 2 shown]
	s_waitcnt vmcnt(16)
	v_lshrrev_b32_e32 v42, 16, v13
	s_waitcnt vmcnt(15)
	v_lshrrev_b32_e32 v41, 16, v12
	s_waitcnt vmcnt(14)
	v_lshrrev_b32_e32 v40, 16, v11
	s_waitcnt vmcnt(13)
	v_lshrrev_b32_e32 v38, 16, v10
	s_waitcnt vmcnt(12)
	v_lshrrev_b32_e32 v36, 16, v9
	s_waitcnt vmcnt(11)
	v_lshrrev_b32_e32 v35, 16, v8
	s_waitcnt vmcnt(10)
	v_lshrrev_b32_e32 v34, 16, v7
	s_waitcnt vmcnt(9)
	v_lshrrev_b32_e32 v33, 16, v30
	s_waitcnt vmcnt(8)
	v_lshrrev_b32_e32 v39, 16, v32
	s_waitcnt vmcnt(7)
	v_lshrrev_b32_e32 v37, 16, v31
	s_waitcnt vmcnt(6)
	v_lshrrev_b32_e32 v29, 16, v26
	s_waitcnt vmcnt(5)
	v_lshrrev_b32_e32 v28, 16, v24
	s_waitcnt vmcnt(4)
	v_lshrrev_b32_e32 v27, 16, v19
	s_waitcnt vmcnt(3)
	v_lshrrev_b32_e32 v25, 16, v17
	s_waitcnt vmcnt(2)
	v_lshrrev_b32_e32 v20, 16, v15
	s_waitcnt vmcnt(1)
	v_lshrrev_b32_e32 v18, 16, v14
.LBB0_11:
	s_or_b32 exec_lo, exec_lo, s14
	v_add_f16_e32 v63, v13, v14
	s_delay_alu instid0(VALU_DEP_2)
	v_sub_f16_e32 v5, v42, v18
	v_add_f16_e32 v65, v12, v15
	v_sub_f16_e32 v58, v13, v14
	v_sub_f16_e32 v43, v41, v20
	v_mul_f16_e32 v84, 0x3722, v63
	v_add_f16_e32 v48, v42, v18
	v_mul_f16_e32 v88, 0xb8d2, v65
	v_mul_f16_e32 v86, 0xbb29, v58
	;; [unrolled: 1-line block ×3, first 2 shown]
	v_fmamk_f16 v6, v5, 0xbb29, v84
	v_sub_f16_e32 v60, v12, v15
	v_fmamk_f16 v44, v43, 0xba62, v88
	v_add_f16_e32 v68, v11, v17
	s_waitcnt vmcnt(0)
	v_lshrrev_b32_e32 v45, 16, v16
	v_add_f16_e32 v6, v16, v6
	v_fma_f16 v21, v48, 0x3722, -v86
	v_mul_f16_e32 v82, 0xbbf7, v58
	v_fmamk_f16 v22, v5, 0xbbf7, v81
	v_add_f16_e32 v47, v41, v20
	v_mul_f16_e32 v87, 0xba62, v60
	v_add_f16_e32 v6, v6, v44
	v_mul_f16_e32 v83, 0xbbdd, v65
	v_sub_f16_e32 v44, v40, v25
	v_mul_f16_e32 v91, 0xbbdd, v68
	v_sub_f16_e32 v61, v11, v17
	v_add_f16_e32 v21, v45, v21
	v_fma_f16 v23, v48, 0x2de8, -v82
	v_add_f16_e32 v22, v16, v22
	v_fma_f16 v46, v47, 0xb8d2, -v87
	v_mul_f16_e32 v85, 0xb1e1, v60
	v_fmamk_f16 v49, v43, 0xb1e1, v83
	v_add_f16_e32 v52, v40, v25
	v_fmamk_f16 v51, v44, 0x31e1, v91
	v_mul_f16_e32 v89, 0x31e1, v61
	v_add_f16_e32 v70, v10, v19
	v_sub_f16_e32 v62, v10, v19
	v_add_f16_e32 v23, v45, v23
	v_fma_f16 v50, v47, 0xbbdd, -v85
	v_add_f16_e32 v21, v21, v46
	v_add_f16_e32 v22, v22, v49
	;; [unrolled: 1-line block ×3, first 2 shown]
	v_fma_f16 v49, v52, 0xbbdd, -v89
	v_mul_f16_e32 v94, 0xb461, v68
	v_mul_f16_e32 v96, 0x3bb2, v61
	v_sub_f16_e32 v46, v38, v27
	v_mul_f16_e32 v93, 0xb461, v70
	v_add_f16_e32 v51, v38, v27
	v_mul_f16_e32 v90, 0x3bb2, v62
	v_add_f16_e32 v23, v23, v50
	v_fmamk_f16 v50, v44, 0x3bb2, v94
	v_fma_f16 v53, v52, 0xb461, -v96
	v_fmamk_f16 v54, v46, 0x3bb2, v93
	v_add_f16_e32 v21, v21, v49
	v_fma_f16 v49, v51, 0xb461, -v90
	v_mul_f16_e32 v107, 0x3b76, v70
	v_add_f16_e32 v72, v9, v24
	v_mul_f16_e32 v113, 0x35c8, v62
	v_sub_f16_e32 v64, v9, v24
	v_add_f16_e32 v22, v22, v50
	v_add_f16_e32 v23, v23, v53
	v_add_f16_e32 v6, v6, v54
	v_add_f16_e32 v21, v21, v49
	v_fmamk_f16 v50, v46, 0x35c8, v107
	v_sub_f16_e32 v49, v36, v28
	v_add_f16_e32 v53, v36, v28
	v_mul_f16_e32 v92, 0x3964, v64
	v_fma_f16 v54, v51, 0x3b76, -v113
	v_mul_f16_e64 v150, 0x3722, v72
	v_mul_f16_e32 v95, 0x39e9, v72
	v_add_f16_e32 v22, v22, v50
	v_fma_f16 v50, v53, 0x39e9, -v92
	v_add_f16_e32 v23, v23, v54
	v_fma_f16 v54, 0xbb29, v49, v150
	v_mul_f16_e64 v154, 0xbb29, v64
	v_add_f16_e32 v73, v8, v26
	v_sub_f16_e32 v66, v8, v26
	v_fmamk_f16 v55, v49, 0x3964, v95
	v_add_f16_e32 v21, v21, v50
	v_add_f16_e32 v22, v22, v54
	v_fma_f16 v50, v53, 0x3722, -v154
	v_sub_f16_e32 v54, v35, v29
	v_mul_f16_e32 v97, 0x3b76, v73
	v_add_f16_e32 v56, v35, v29
	v_mul_f16_e64 v144, 0xb5c8, v66
	v_add_f16_e32 v6, v6, v55
	v_add_f16_e32 v23, v23, v50
	v_mul_f16_e64 v159, 0xbacd, v73
	v_fmamk_f16 v50, v54, 0xb5c8, v97
	v_add_f16_e32 v74, v7, v31
	v_fma_f16 v57, v56, 0x3b76, -v144
	v_mul_f16_e64 v161, 0xb836, v66
	v_sub_f16_e32 v69, v7, v31
	v_fma_f16 v59, 0xb836, v54, v159
	v_sub_f16_e32 v55, v34, v37
	v_mul_f16_e32 v102, 0x2de8, v74
	v_add_f16_e32 v6, v6, v50
	v_add_f16_e32 v21, v21, v57
	;; [unrolled: 1-line block ×3, first 2 shown]
	v_mul_f16_e64 v163, 0xbbf7, v69
	v_fma_f16 v50, v56, 0xbacd, -v161
	v_mul_f16_e64 v164, 0xb8d2, v74
	v_fmamk_f16 v67, v55, 0xbbf7, v102
	v_add_f16_e32 v22, v22, v59
	v_fma_f16 v59, v57, 0x2de8, -v163
	v_add_f16_e32 v23, v23, v50
	v_fma_f16 v50, 0x3a62, v55, v164
	v_mul_f16_e64 v165, 0x3a62, v69
	v_add_f16_e32 v76, v30, v32
	v_sub_f16_e32 v75, v30, v32
	v_add_f16_e32 v6, v6, v67
	v_add_f16_e32 v67, v21, v59
	v_add_f16_e32 v71, v22, v50
	v_fma_f16 v21, v57, 0xb8d2, -v165
	v_sub_f16_e32 v50, v33, v39
	v_mul_f16_e32 v105, 0xbacd, v76
	v_add_f16_e32 v59, v33, v39
	v_mul_f16_e64 v166, 0xb836, v75
	v_mul_f16_e64 v167, 0x3964, v75
	;; [unrolled: 1-line block ×3, first 2 shown]
	v_add_f16_e32 v23, v23, v21
	v_fmamk_f16 v21, v50, 0xb836, v105
	v_fma_f16 v22, v59, 0xbacd, -v166
	v_fma_f16 v77, v59, 0x39e9, -v167
	v_fma_f16 v78, 0x3964, v50, v168
	s_delay_alu instid0(VALU_DEP_4) | instskip(NEXT) | instid1(VALU_DEP_4)
	v_add_f16_e32 v21, v6, v21
	v_add_f16_e32 v22, v67, v22
	s_delay_alu instid0(VALU_DEP_4) | instskip(NEXT) | instid1(VALU_DEP_4)
	v_add_f16_e32 v23, v23, v77
	v_add_f16_e32 v6, v71, v78
	s_and_saveexec_b32 s1, s0
	s_cbranch_execz .LBB0_13
; %bb.12:
	v_mul_f16_e32 v106, 0xb1e1, v58
	v_mul_f16_e32 v104, 0xbbdd, v63
	;; [unrolled: 1-line block ×5, first 2 shown]
	v_fmamk_f16 v67, v48, 0xbbdd, v106
	v_fmamk_f16 v71, v5, 0x31e1, v104
	v_mul_f16_e32 v99, 0xbacd, v68
	v_fmamk_f16 v77, v47, 0x3b76, v112
	v_fmamk_f16 v78, v43, 0xb5c8, v98
	v_add_f16_e32 v67, v45, v67
	v_add_f16_e32 v71, v16, v71
	v_mul_f16_e32 v114, 0x3964, v62
	v_mul_f16_e32 v100, 0x39e9, v70
	v_fmamk_f16 v79, v52, 0xbacd, v109
	v_add_f16_e32 v67, v67, v77
	v_fmamk_f16 v77, v44, 0x3836, v99
	v_add_f16_e32 v71, v71, v78
	v_mul_f16_e32 v115, 0xba62, v64
	v_fmamk_f16 v80, v51, 0x39e9, v114
	v_add_f16_e32 v67, v67, v79
	v_mul_f16_e32 v101, 0xb8d2, v72
	v_fmamk_f16 v78, v46, 0xb964, v100
	v_add_f16_e32 v71, v71, v77
	v_fmamk_f16 v79, v53, 0xb8d2, v115
	v_add_f16_e32 v67, v67, v80
	v_mul_f16_e32 v110, 0x3b29, v66
	v_fmamk_f16 v77, v49, 0x3a62, v101
	v_add_f16_e32 v71, v71, v78
	v_mul_f16_e32 v126, 0xb836, v58
	v_add_f16_e32 v67, v67, v79
	v_fmamk_f16 v78, v56, 0x3722, v110
	v_mul_f16_e32 v127, 0x3b29, v60
	v_add_f16_e32 v71, v71, v77
	v_fmamk_f16 v77, v48, 0xbacd, v126
	;; [unrolled: 3-line block ×3, first 2 shown]
	v_mul_f16_e64 v128, 0xbbf7, v61
	v_add_f16_e32 v77, v45, v77
	v_fmamk_f16 v79, v54, 0xbb29, v103
	v_mul_f16_e32 v125, 0xbbb2, v69
	v_mul_f16_e32 v108, 0xb461, v74
	v_mul_f16_e64 v134, 0x3a62, v62
	v_add_f16_e32 v77, v77, v78
	v_fma_f16 v78, 0x2de8, v52, v128
	v_add_f16_e32 v71, v71, v79
	v_fmamk_f16 v79, v57, 0xb461, v125
	v_fmamk_f16 v80, v55, 0x3bb2, v108
	v_mul_f16_e64 v133, 0x3bf7, v75
	v_add_f16_e32 v77, v77, v78
	v_fma_f16 v78, 0xb8d2, v51, v134
	v_mul_f16_e32 v116, 0xb5c8, v64
	v_mul_f16_e64 v137, 0xbacd, v63
	v_add_f16_e32 v67, v67, v79
	v_fma_f16 v79, 0x2de8, v59, v133
	v_add_f16_e32 v71, v71, v80
	v_mul_f16_e32 v111, 0x2de8, v76
	v_add_f16_e32 v77, v77, v78
	v_fmamk_f16 v78, v53, 0x3b76, v116
	v_mul_f16_e64 v135, 0xb1e1, v66
	v_fma_f16 v80, 0x3836, v5, v137
	v_mul_f16_e64 v138, 0x3722, v65
	v_add_f16_e32 v67, v67, v79
	v_fmamk_f16 v79, v50, 0xbbf7, v111
	v_add_f16_e32 v77, v77, v78
	v_fma_f16 v78, 0xbbdd, v56, v135
	v_mul_f16_e64 v136, 0x3964, v69
	v_add_f16_e32 v80, v16, v80
	v_fma_f16 v117, 0xbb29, v43, v138
	v_mul_f16_e64 v139, 0x2de8, v68
	v_add_f16_e32 v77, v77, v78
	v_fma_f16 v78, 0x39e9, v57, v136
	v_add_f16_e32 v71, v71, v79
	v_add_f16_e32 v79, v80, v117
	v_fma_f16 v80, 0x3bf7, v44, v139
	v_mul_f16_e32 v117, 0xb8d2, v70
	v_add_f16_e32 v77, v77, v78
	v_mul_f16_e64 v140, 0xba62, v58
	v_mul_f16_e32 v118, 0x3b76, v72
	v_add_f16_e32 v78, v79, v80
	v_fmamk_f16 v79, v46, 0xba62, v117
	v_mul_f16_e32 v119, 0xbbdd, v73
	v_fma_f16 v120, 0xb8d2, v48, v140
	v_mul_f16_e64 v146, 0xb8d2, v63
	v_mul_f16_e64 v141, 0x3bb2, v60
	v_add_f16_e32 v78, v78, v79
	v_fmamk_f16 v79, v49, 0x35c8, v118
	v_add_f16_e32 v122, v45, v120
	v_mul_f16_e32 v120, 0x39e9, v74
	v_fma_f16 v142, 0x3a62, v5, v146
	v_mul_f16_e64 v147, 0xb461, v65
	v_add_f16_e32 v78, v78, v79
	v_fmamk_f16 v79, v54, 0x31e1, v119
	v_mul_f16_e32 v121, 0xbbb2, v75
	v_fma_f16 v123, 0xb461, v47, v141
	v_mul_f16_e64 v129, 0xb5c8, v61
	v_mul_f16_e32 v124, 0xb461, v76
	v_add_f16_e32 v78, v78, v79
	v_fmamk_f16 v79, v55, 0xb964, v120
	v_add_f16_e64 v143, v16, v142
	v_fma_f16 v145, 0xbbb2, v43, v147
	v_mul_f16_e64 v156, 0xbbb2, v58
	v_fmamk_f16 v80, v59, 0xb461, v121
	v_add_f16_e32 v122, v122, v123
	v_fma_f16 v123, 0x3b76, v52, v129
	v_mul_f16_e64 v130, 0xb836, v62
	v_add_f16_e32 v78, v78, v79
	v_fma_f16 v132, 0x3bb2, v50, v124
	v_mul_f16_e64 v148, 0x3b76, v68
	v_add_f16_e64 v143, v143, v145
	v_fma_f16 v145, 0xb461, v48, v156
	v_mul_f16_e64 v157, 0x3836, v60
	v_add_f16_e32 v77, v77, v80
	v_add_f16_e32 v80, v122, v123
	v_fma_f16 v122, 0xbacd, v51, v130
	v_mul_f16_e64 v131, 0x3bf7, v64
	v_fma_f16 v149, 0x35c8, v44, v148
	v_mul_f16_e64 v160, 0xbacd, v70
	v_add_f16_e64 v78, v78, v132
	v_add_f16_e64 v132, v45, v145
	v_fma_f16 v145, 0xbacd, v47, v157
	v_mul_f16_e64 v158, 0x3964, v61
	v_add_f16_e32 v79, v80, v122
	v_fma_f16 v80, 0x2de8, v53, v131
	v_mul_f16_e32 v122, 0xb964, v66
	v_add_f16_e64 v143, v143, v149
	v_fma_f16 v149, 0x3836, v46, v160
	v_mul_f16_e64 v162, 0x2de8, v72
	v_add_f16_e64 v132, v132, v145
	v_fma_f16 v145, 0x39e9, v52, v158
	v_mul_f16_e64 v152, 0xbb29, v62
	v_add_f16_e32 v79, v79, v80
	v_fmamk_f16 v80, v56, 0x39e9, v122
	v_mul_f16_e32 v123, 0xb1e1, v69
	v_add_f16_e64 v143, v143, v149
	v_fma_f16 v149, 0xbbf7, v49, v162
	v_mul_f16_e64 v155, 0x39e9, v73
	v_add_f16_e64 v132, v132, v145
	v_fma_f16 v145, 0x3722, v51, v152
	v_mul_f16_e64 v153, 0xb1e1, v64
	v_add_f16_e32 v79, v79, v80
	v_fmamk_f16 v80, v57, 0xbbdd, v123
	v_mul_f16_e64 v142, 0x3b29, v75
	v_add_f16_e64 v143, v143, v149
	v_fma_f16 v169, 0x3964, v54, v155
	v_mul_f16_e64 v149, 0xbbdd, v74
	v_add_f16_e64 v132, v132, v145
	v_fma_f16 v145, 0xbbdd, v53, v153
	v_mul_f16_e64 v151, 0x3bf7, v66
	v_add_f16_e32 v79, v79, v80
	v_add_f16_e64 v80, v143, v169
	v_fma_f16 v169, 0x31e1, v55, v149
	v_add_f16_e64 v132, v132, v145
	v_fma_f16 v170, 0x2de8, v56, v151
	v_mul_f16_e64 v145, 0xb5c8, v69
	v_fma_f16 v171, 0x3722, v59, v142
	v_mul_f16_e64 v143, 0x3722, v76
	v_add_f16_e64 v80, v80, v169
	v_add_f16_e64 v169, v132, v170
	v_fma_f16 v170, 0x3b76, v57, v145
	v_mul_f16_e64 v132, 0xba62, v75
	v_fma_f16 v172, 0xbb29, v50, v143
	v_add_f16_e64 v79, v79, v171
	v_mul_f16_e64 v171, 0xbbf7, v5
	v_add_f16_e64 v169, v169, v170
	v_fma_f16 v170, 0xb8d2, v59, v132
	v_add_f16_e64 v80, v80, v172
	v_mul_f16_e64 v172, 0xb1e1, v43
	v_sub_f16_e64 v171, v81, v171
	v_mul_f16_e64 v173, 0x2de8, v48
	v_add_f16_e64 v81, v169, v170
	v_mul_f16_e64 v169, 0xbbdd, v47
	v_sub_f16_e64 v170, v83, v172
	v_add_f16_e64 v171, v16, v171
	v_add_f16_e64 v83, v173, v82
	v_mul_f16_e64 v172, 0x3bb2, v44
	v_mul_f16_e64 v173, 0xb461, v52
	v_add_f16_e64 v82, v169, v85
	v_add_f16_e64 v169, v171, v170
	v_mul_f16_e64 v170, 0x3722, v48
	v_sub_f16_e64 v94, v94, v172
	v_add_f16_e64 v85, v173, v96
	v_mul_f16_e32 v96, 0x35c8, v46
	v_mul_f16_e64 v171, 0xb8d2, v47
	v_add_f16_e64 v86, v170, v86
	v_add_f16_e64 v94, v169, v94
	v_mul_f16_e64 v169, 0x3b76, v51
	v_sub_f16_e32 v96, v107, v96
	v_add_f16_e64 v87, v171, v87
	v_add_f16_e32 v107, v45, v86
	v_mul_f16_e64 v170, 0xbbdd, v52
	v_add_f16_e64 v86, v169, v113
	v_mul_f16_e32 v113, 0xbb29, v49
	v_add_f16_e32 v94, v94, v96
	v_add_f16_e32 v107, v107, v87
	v_add_f16_e64 v89, v170, v89
	v_mul_f16_e64 v170, 0xb461, v51
	v_sub_f16_e64 v96, v150, v113
	v_mul_f16_e32 v113, 0xb836, v54
	v_mul_f16_e64 v169, 0x3722, v53
	v_add_f16_e32 v89, v107, v89
	v_add_f16_e64 v90, v170, v90
	v_mul_f16_e32 v107, 0x39e9, v53
	v_add_f16_e32 v94, v94, v96
	v_mul_f16_e32 v96, 0xbacd, v56
	v_mul_f16_e64 v150, 0x39e9, v59
	v_add_f16_e32 v90, v89, v90
	v_add_f16_e32 v92, v107, v92
	v_sub_f16_e64 v107, v159, v113
	v_mul_f16_e32 v113, 0x3b76, v56
	v_add_f16_e64 v89, v96, v161
	v_mul_f16_e32 v96, 0x3a62, v55
	v_add_f16_e32 v92, v90, v92
	v_add_f16_e32 v94, v94, v107
	v_add_f16_e64 v113, v113, v144
	v_mul_f16_e32 v107, 0x2de8, v57
	v_sub_f16_e64 v96, v164, v96
	v_mul_f16_e64 v144, 0xbacd, v59
	v_add_f16_e64 v87, v169, v154
	v_add_f16_e32 v92, v92, v113
	v_mul_f16_e32 v113, 0x3964, v50
	v_add_f16_e64 v107, v107, v163
	v_add_f16_e32 v94, v94, v96
	v_mul_f16_e64 v154, 0xba62, v43
	v_mul_f16_e64 v159, 0x31e1, v44
	v_sub_f16_e64 v96, v168, v113
	v_add_f16_e64 v113, v144, v166
	v_mul_f16_e64 v144, 0x39e9, v63
	v_add_f16_e32 v107, v92, v107
	v_add_f16_e64 v92, v150, v167
	v_mul_f16_e64 v150, 0xbb29, v5
	v_mul_f16_e64 v163, 0x2de8, v65
	v_fma_f16 v161, 0x3964, v5, v144
	v_mul_f16_e32 v90, 0xb8d2, v57
	v_add_f16_e32 v94, v94, v96
	v_add_f16_e32 v96, v107, v113
	v_sub_f16_e64 v113, v84, v150
	v_sub_f16_e64 v88, v88, v154
	v_add_f16_e64 v84, v16, v161
	v_fma_f16 v107, 0x3bf7, v43, v163
	v_mul_f16_e64 v150, 0xb8d2, v68
	v_mul_f16_e64 v154, 0x3bb2, v46
	v_sub_f16_e64 v91, v91, v159
	v_mul_f16_e64 v159, 0x3964, v49
	v_add_f16_e64 v90, v90, v165
	v_add_f16_e32 v84, v84, v107
	v_fma_f16 v161, 0x3a62, v44, v150
	v_mul_f16_e64 v164, 0xbbdd, v70
	v_mul_f16_e64 v165, 0xb5c8, v54
	;; [unrolled: 1-line block ×3, first 2 shown]
	v_sub_f16_e64 v107, v93, v154
	v_sub_f16_e64 v93, v95, v159
	v_mul_f16_e64 v159, 0xb5c8, v58
	v_add_f16_e64 v154, v84, v161
	v_fma_f16 v161, 0x31e1, v46, v164
	v_mul_f16_e64 v167, 0xbacd, v72
	v_sub_f16_e64 v84, v97, v165
	v_sub_f16_e64 v95, v102, v166
	v_fma_f16 v102, 0x3b76, v48, v159
	v_mul_f16_e64 v165, 0xb964, v60
	v_add_f16_e64 v97, v154, v161
	v_fma_f16 v154, 0xb836, v49, v167
	v_mul_f16_e64 v161, 0xb461, v73
	v_add_f16_e32 v102, v45, v102
	v_fma_f16 v168, 0x39e9, v47, v165
	v_mul_f16_e64 v169, 0xbb29, v61
	v_add_f16_e64 v97, v97, v154
	v_fma_f16 v154, 0xbbb2, v54, v161
	v_mul_f16_e64 v166, 0x3722, v74
	v_mul_f16_e64 v170, 0xb836, v50
	v_add_f16_e64 v102, v102, v168
	v_fma_f16 v168, 0x3722, v52, v169
	v_mul_f16_e64 v172, 0xbbf7, v62
	v_add_f16_e64 v154, v97, v154
	v_fma_f16 v171, 0xbb29, v55, v166
	v_sub_f16_e64 v97, v105, v170
	v_add_f16_e64 v102, v102, v168
	v_fma_f16 v168, 0x2de8, v51, v172
	v_mul_f16_e64 v170, 0xbbb2, v64
	v_add_f16_e64 v105, v154, v171
	v_mul_f16_e64 v171, 0x3b76, v76
	v_mul_f16_e64 v175, 0xba62, v66
	v_add_f16_e64 v102, v102, v168
	v_fma_f16 v168, 0xb461, v53, v170
	v_fma_f16 v112, v47, 0x3b76, -v112
	v_fma_f16 v180, 0xb5c8, v50, v171
	v_fma_f16 v109, v52, 0xbacd, -v109
	v_fma_f16 v114, v51, 0x39e9, -v114
	v_add_f16_e64 v102, v102, v168
	v_fma_f16 v168, 0xb8d2, v56, v175
	v_fmac_f16_e32 v104, 0xb1e1, v5
	v_fmac_f16_e32 v98, 0x35c8, v43
	v_fma_f16 v126, v48, 0xbacd, -v126
	v_fmac_f16_e32 v99, 0xb836, v44
	v_add_f16_e64 v168, v102, v168
	v_add_f16_e64 v102, v105, v180
	v_fma_f16 v105, v48, 0xbbdd, -v106
	v_fmac_f16_e32 v100, 0x3964, v46
	v_fmac_f16_e32 v101, 0xba62, v49
	v_fmac_f16_e64 v137, 0xb836, v5
	v_fmac_f16_e64 v138, 0x3b29, v43
	v_add_f16_e32 v105, v45, v105
	v_fmac_f16_e32 v103, 0x3b29, v54
	v_fmac_f16_e64 v139, 0xbbf7, v44
	v_fma_f16 v110, v56, 0x3722, -v110
	v_fmac_f16_e32 v108, 0xbbb2, v55
	v_add_f16_e32 v112, v105, v112
	v_fmac_f16_e32 v117, 0x3a62, v46
	v_fmac_f16_e32 v111, 0x3bf7, v50
	v_fmac_f16_e32 v118, 0xb5c8, v49
	v_fmac_f16_e64 v146, 0xba62, v5
	v_add_f16_e32 v112, v112, v109
	v_fmac_f16_e64 v147, 0x3bb2, v43
	v_fmac_f16_e64 v148, 0xb5c8, v44
	v_mul_f16_e64 v154, 0x3b76, v63
	v_fmac_f16_e64 v160, 0xb836, v46
	v_add_f16_e32 v112, v112, v114
	v_fma_f16 v114, v53, 0xb8d2, -v115
	v_add_f16_e32 v115, v16, v104
	v_mul_f16_e32 v63, 0xb461, v63
	v_fma_f16 v173, 0x35c8, v5, v154
	v_mul_f16_e64 v174, 0x39e9, v65
	v_add_f16_e32 v112, v112, v114
	v_add_f16_e32 v98, v115, v98
	;; [unrolled: 1-line block ×3, first 2 shown]
	v_fma_f16 v115, v47, 0x3722, -v127
	v_fmac_f16_e64 v162, 0x3bf7, v49
	v_add_f16_e32 v110, v112, v110
	v_add_f16_e32 v98, v98, v99
	v_fma_f16 v112, v57, 0xb461, -v125
	v_add_f16_e32 v99, v114, v115
	v_fma_f16 v114, v52, 0x2de8, -v128
	v_mul_f16_e32 v65, 0xbacd, v65
	v_add_f16_e32 v98, v98, v100
	v_fma_f16 v100, v51, 0xb8d2, -v134
	v_add_f16_e32 v110, v110, v112
	v_add_f16_e32 v99, v99, v114
	v_fma_f16 v112, v59, 0x2de8, -v133
	v_add_f16_e32 v98, v98, v101
	v_add_f16_e64 v101, v16, v137
	v_fmamk_f16 v114, v5, 0x3bb2, v63
	v_add_f16_e32 v99, v99, v100
	v_fma_f16 v100, v53, 0x3b76, -v116
	v_add_f16_e32 v98, v98, v103
	v_add_f16_e64 v101, v101, v138
	v_fma_f16 v103, v48, 0xb8d2, -v140
	v_add_f16_e32 v110, v110, v112
	v_add_f16_e32 v99, v99, v100
	v_fma_f16 v100, v56, 0xbbdd, -v135
	v_add_f16_e64 v101, v101, v139
	v_add_f16_e32 v98, v98, v108
	v_add_f16_e32 v103, v45, v103
	v_fma_f16 v108, v47, 0xb461, -v141
	v_add_f16_e32 v99, v99, v100
	v_fma_f16 v100, v57, 0x39e9, -v136
	v_add_f16_e32 v101, v101, v117
	v_add_f16_e32 v98, v98, v111
	v_fma_f16 v111, v48, 0xb461, -v156
	v_fma_f16 v112, v47, 0xbacd, -v157
	v_add_f16_e32 v99, v99, v100
	v_fma_f16 v100, v59, 0xb461, -v121
	v_fmac_f16_e32 v63, 0xbbb2, v5
	v_add_f16_e32 v111, v45, v111
	v_add_f16_e64 v173, v16, v173
	v_fma_f16 v176, 0x3964, v43, v174
	v_add_f16_e32 v99, v99, v100
	v_add_f16_e32 v100, v101, v118
	;; [unrolled: 1-line block ×3, first 2 shown]
	v_add_f16_e64 v108, v16, v146
	v_fma_f16 v103, v52, 0x3b76, -v129
	v_add_f16_e32 v111, v111, v112
	v_fma_f16 v112, v52, 0x39e9, -v158
	v_mul_f16_e64 v177, 0x3722, v68
	v_add_f16_e64 v108, v108, v147
	v_add_f16_e32 v101, v101, v103
	v_fma_f16 v103, v51, 0xbacd, -v130
	v_add_f16_e32 v111, v111, v112
	v_fma_f16 v112, v51, 0x3722, -v152
	v_add_f16_e64 v108, v108, v148
	v_fmac_f16_e64 v155, 0xb964, v54
	v_add_f16_e32 v101, v101, v103
	v_fma_f16 v103, v53, 0x2de8, -v131
	v_add_f16_e32 v111, v111, v112
	v_add_f16_e64 v108, v108, v160
	v_fma_f16 v112, v53, 0xbbdd, -v153
	v_add_f16_e32 v63, v16, v63
	v_add_f16_e32 v101, v101, v103
	v_fma_f16 v103, v56, 0x39e9, -v122
	v_add_f16_e64 v108, v108, v162
	v_fmamk_f16 v115, v43, 0xb836, v65
	v_fmac_f16_e32 v65, 0x3836, v43
	v_mul_f16_e32 v68, 0x39e9, v68
	v_add_f16_e64 v173, v173, v176
	v_fma_f16 v176, 0x3b29, v44, v177
	v_mul_f16_e64 v179, 0x2de8, v70
	v_add_f16_e32 v101, v101, v103
	v_fma_f16 v103, v57, 0xbbdd, -v123
	v_add_f16_e64 v108, v108, v155
	v_fmac_f16_e64 v149, 0xb1e1, v55
	v_add_f16_e32 v111, v111, v112
	v_fma_f16 v112, v56, 0x2de8, -v151
	v_add_f16_e32 v63, v63, v65
	v_fmamk_f16 v65, v44, 0xb964, v68
	v_fmac_f16_e32 v68, 0x3964, v44
	v_mul_f16_e32 v70, 0x3722, v70
	v_add_f16_e64 v173, v173, v176
	v_fma_f16 v176, 0x3bf7, v46, v179
	v_mul_f16_e64 v182, 0xb461, v72
	v_add_f16_e32 v101, v101, v103
	v_fma_f16 v103, v59, 0x3722, -v142
	v_add_f16_e64 v108, v108, v149
	v_fmac_f16_e64 v143, 0x3b29, v50
	v_add_f16_e32 v111, v111, v112
	v_fma_f16 v112, v57, 0x3b76, -v145
	v_add_f16_e32 v63, v63, v68
	v_fmamk_f16 v68, v46, 0x3b29, v70
	v_fmac_f16_e32 v70, 0xbb29, v46
	v_mul_f16_e32 v72, 0xbbdd, v72
	v_mul_f16_e32 v58, 0xb964, v58
	v_add_f16_e64 v106, v173, v176
	v_mul_f16_e64 v176, 0xb8d2, v73
	v_add_f16_e32 v101, v101, v103
	v_add_f16_e64 v103, v108, v143
	v_add_f16_e32 v108, v111, v112
	v_add_f16_e32 v63, v63, v70
	v_fmamk_f16 v70, v49, 0x31e1, v72
	v_fmac_f16_e32 v72, 0xb1e1, v49
	v_mul_f16_e32 v73, 0x2de8, v73
	v_fma_f16 v112, v48, 0x39e9, -v58
	v_mul_f16_e32 v60, 0xbbf7, v60
	v_fma_f16 v173, 0x3bb2, v49, v182
	v_fma_f16 v111, v59, 0xb8d2, -v132
	v_add_f16_e32 v63, v63, v72
	v_fmamk_f16 v72, v54, 0xbbf7, v73
	v_fmac_f16_e32 v73, 0x3bf7, v54
	v_add_f16_e32 v112, v45, v112
	v_fma_f16 v116, v47, 0x2de8, -v60
	v_mul_f16_e32 v61, 0xba62, v61
	v_add_f16_e64 v173, v106, v173
	v_mul_f16_e32 v106, 0xbacd, v74
	v_add_f16_e32 v108, v108, v111
	v_mul_f16_e32 v74, 0x3b76, v74
	v_add_f16_e32 v63, v63, v73
	v_add_f16_e32 v73, v112, v116
	v_fma_f16 v111, v52, 0xb8d2, -v61
	v_mul_f16_e32 v62, 0xb1e1, v62
	v_fmamk_f16 v112, v55, 0x35c8, v74
	v_fmac_f16_e32 v74, 0xb5c8, v55
	v_mul_f16_e32 v64, 0x3836, v64
	v_add_f16_e32 v73, v73, v111
	v_fma_f16 v111, v51, 0xbbdd, -v62
	v_mul_f16_e32 v66, 0x3bb2, v66
	v_add_f16_e32 v63, v63, v74
	v_fma_f16 v74, v53, 0xbacd, -v64
	v_mul_f16_e64 v178, 0xb836, v69
	v_add_f16_e32 v73, v73, v111
	v_mul_f16_e32 v69, 0x3b29, v69
	v_add_f16_e32 v13, v16, v13
	v_add_f16_e32 v42, v45, v42
	v_fma_f16 v118, v47, 0x39e9, -v165
	v_add_f16_e32 v73, v73, v74
	v_fma_f16 v74, v56, 0xb461, -v66
	v_add_f16_e32 v12, v13, v12
	v_add_f16_e32 v41, v42, v41
	v_fmac_f16_e64 v144, 0xb964, v5
	v_fmac_f16_e64 v154, 0xb5c8, v5
	v_add_f16_e32 v73, v73, v74
	v_fma_f16 v74, v57, 0x3722, -v69
	v_add_f16_e32 v11, v12, v11
	v_add_f16_e32 v5, v41, v40
	v_add_f16_e64 v12, v16, v154
	v_fmac_f16_e64 v174, 0xb964, v43
	v_add_f16_e32 v73, v73, v74
	v_fma_f16 v74, v48, 0x3b76, -v159
	v_add_f16_e32 v10, v11, v10
	v_add_f16_e32 v5, v5, v38
	v_fma_f16 v11, v53, 0xb461, -v170
	v_mul_f16_e64 v180, 0xb1e1, v75
	v_add_f16_e32 v74, v45, v74
	v_fma_f16 v45, v52, 0x3722, -v169
	v_add_f16_e32 v9, v10, v9
	v_add_f16_e32 v5, v5, v36
	v_add_f16_e64 v12, v12, v174
	v_add_f16_e32 v74, v74, v118
	v_fmac_f16_e64 v177, 0xbb29, v44
	v_add_f16_e32 v8, v9, v8
	v_add_f16_e32 v5, v5, v35
	v_fmamk_f16 v48, v48, 0x39e9, v58
	v_add_f16_e32 v42, v74, v45
	v_fmamk_f16 v45, v51, 0xbbdd, v62
	v_fma_f16 v51, v51, 0x2de8, -v172
	v_add_f16_e32 v7, v8, v7
	v_add_f16_e32 v5, v5, v34
	v_add_f16_e64 v12, v12, v177
	v_fmac_f16_e64 v179, 0xbbf7, v46
	v_add_f16_e32 v42, v42, v51
	v_add_f16_e32 v7, v7, v30
	;; [unrolled: 1-line block ×3, first 2 shown]
	v_fmamk_f16 v47, v47, 0x2de8, v60
	v_add_f16_e64 v8, v12, v179
	v_add_f16_e32 v10, v42, v11
	v_fma_f16 v11, v56, 0xb8d2, -v175
	v_add_f16_e32 v7, v7, v32
	v_add_f16_e32 v5, v5, v39
	v_pack_b32_f16 v12, v114, v83
	v_fmamk_f16 v52, v52, 0xb8d2, v61
	v_add_f16_e32 v9, v10, v11
	v_fma_f16 v10, v57, 0xbacd, -v178
	v_add_f16_e32 v7, v31, v7
	v_add_f16_e32 v5, v37, v5
	v_add_f16_e64 v116, v16, v144
	v_pk_add_f16 v12, v16, v12
	v_add_f16_e32 v9, v9, v10
	v_fma_f16 v10, v59, 0xbbdd, -v180
	v_add_f16_e32 v7, v26, v7
	v_pack_b32_f16 v26, v88, v47
	v_add_f16_e32 v5, v29, v5
	v_fmac_f16_e64 v163, 0xbbf7, v43
	v_add_f16_e32 v9, v9, v10
	v_pack_b32_f16 v10, v113, v48
	v_add_f16_e32 v7, v24, v7
	v_pack_b32_f16 v24, v91, v52
	v_add_f16_e32 v5, v28, v5
	v_fmamk_f16 v13, v53, 0xbacd, v64
	v_pk_add_f16 v10, v16, v10
	v_pack_b32_f16 v16, v115, v82
	v_add_f16_e32 v7, v19, v7
	v_pack_b32_f16 v19, v107, v45
	v_add_f16_e32 v5, v27, v5
	v_pk_add_f16 v10, v10, v26
	v_pk_add_f16 v12, v12, v16
	v_pack_b32_f16 v16, v65, v85
	v_add_f16_e64 v111, v116, v163
	v_fmac_f16_e64 v150, 0xba62, v44
	v_pk_add_f16 v10, v10, v24
	v_fma_f16 v181, 0xbacd, v57, v178
	v_pk_add_f16 v12, v12, v16
	v_pack_b32_f16 v16, v68, v86
	v_fmamk_f16 v40, v56, 0xb461, v66
	v_pk_add_f16 v10, v10, v19
	v_pack_b32_f16 v13, v93, v13
	v_add_f16_e32 v5, v25, v5
	v_add_f16_e32 v7, v17, v7
	v_pk_add_f16 v12, v12, v16
	v_pack_b32_f16 v16, v70, v87
	v_add_f16_e64 v111, v111, v150
	v_fmac_f16_e64 v164, 0xb1e1, v46
	v_add_f16_e64 v168, v168, v181
	v_fma_f16 v181, 0x3a62, v54, v176
	v_mul_f16_e32 v75, 0x35c8, v75
	v_fmamk_f16 v41, v57, 0x3722, v69
	v_pk_add_f16 v10, v10, v13
	v_pack_b32_f16 v13, v84, v40
	v_mul_f16_e32 v105, 0xbbdd, v76
	v_mul_f16_e32 v76, 0xb8d2, v76
	v_add_f16_e32 v5, v20, v5
	v_add_f16_e32 v7, v15, v7
	v_pk_add_f16 v12, v12, v16
	v_pack_b32_f16 v15, v72, v89
	v_add_f16_e64 v111, v111, v164
	v_fmac_f16_e64 v167, 0x3836, v49
	v_fmac_f16_e64 v182, 0xbbb2, v49
	v_fma_f16 v183, 0xbbdd, v59, v180
	v_add_f16_e64 v173, v173, v181
	v_fma_f16 v181, 0x3836, v55, v106
	v_fmac_f16_e32 v119, 0xb1e1, v54
	v_fmamk_f16 v60, v59, 0x3b76, v75
	v_pk_add_f16 v10, v10, v13
	v_pack_b32_f16 v13, v95, v41
	v_fmamk_f16 v116, v50, 0x3a62, v76
	v_add_f16_e32 v5, v18, v5
	v_add_f16_e32 v7, v14, v7
	v_pk_add_f16 v12, v12, v15
	v_pack_b32_f16 v14, v112, v90
	v_add_f16_e64 v111, v111, v167
	v_fmac_f16_e64 v161, 0x3bb2, v54
	v_add_f16_e64 v8, v8, v182
	v_fmac_f16_e64 v176, 0xba62, v54
	v_add_f16_e64 v109, v168, v183
	v_add_f16_e64 v168, v173, v181
	v_fma_f16 v173, 0x31e1, v50, v105
	v_add_f16_e32 v100, v100, v119
	v_fmac_f16_e32 v120, 0x3964, v55
	v_pk_add_f16 v10, v10, v13
	v_pack_b32_f16 v13, v97, v60
	v_lshlrev_b32_e32 v5, 16, v5
	v_and_b32_e32 v7, 0xffff, v7
	v_pk_add_f16 v12, v12, v14
	v_pack_b32_f16 v14, v116, v92
	v_add_f16_e64 v58, v111, v161
	v_fmac_f16_e64 v166, 0x3b29, v55
	v_add_f16_e64 v8, v8, v176
	v_fmac_f16_e32 v106, 0xb836, v55
	v_add_f16_e64 v104, v168, v173
	v_add_f16_e32 v100, v100, v120
	v_fmac_f16_e32 v124, 0xbbb2, v50
	v_pk_add_f16 v10, v10, v13
	v_fmac_f16_e32 v76, 0xba62, v50
	v_or_b32_e32 v5, v5, v7
	v_pk_add_f16 v7, v12, v14
	v_fma_f16 v117, v59, 0x3b76, -v75
	v_add_f16_e64 v58, v58, v166
	v_fmac_f16_e64 v171, 0x35c8, v50
	v_add_f16_e32 v8, v8, v106
	v_fmac_f16_e32 v105, 0xb1e1, v50
	v_mad_u32_u24 v12, 0x44, v0, 0
	v_pack_b32_f16 v13, v104, v109
	v_add_f16_e32 v100, v100, v124
	v_bfi_b32 v14, 0xffff, v102, v10
	v_pack_b32_f16 v10, v10, v96
	v_add_f16_e32 v63, v63, v76
	v_bfi_b32 v15, 0xffff, v94, v7
	v_pack_b32_f16 v7, v7, v81
	v_add_f16_e32 v73, v73, v117
	v_add_f16_e64 v11, v58, v171
	v_pack_b32_f16 v16, v78, v77
	v_pack_b32_f16 v17, v80, v79
	v_add_f16_e32 v8, v8, v105
	ds_store_2addr_b32 v12, v5, v13 offset1:1
	ds_store_2addr_b32 v12, v14, v10 offset0:2 offset1:3
	ds_store_2addr_b32 v12, v15, v7 offset0:4 offset1:5
	;; [unrolled: 1-line block ×3, first 2 shown]
	v_pack_b32_f16 v5, v98, v110
	v_pack_b32_f16 v7, v71, v67
	v_pack_b32_f16 v10, v103, v101
	v_pack_b32_f16 v13, v100, v99
	v_pack_b32_f16 v14, v63, v108
	v_perm_b32 v15, v23, v6, 0x5040100
	v_pack_b32_f16 v11, v11, v73
	v_perm_b32 v16, v22, v21, 0x5040100
	v_pack_b32_f16 v8, v8, v9
	ds_store_2addr_b32 v12, v7, v5 offset0:8 offset1:9
	ds_store_2addr_b32 v12, v13, v10 offset0:10 offset1:11
	;; [unrolled: 1-line block ×4, first 2 shown]
	ds_store_b32 v12, v8 offset:64
.LBB0_13:
	s_or_b32 exec_lo, exec_lo, s1
	v_and_b32_e32 v5, 0xff, v0
	s_load_b64 s[2:3], s[2:3], 0x0
	s_waitcnt lgkmcnt(0)
	s_barrier
	buffer_gl0_inv
	v_mul_lo_u16 v5, 0xf1, v5
	v_lshl_add_u32 v9, v0, 2, 0
	v_cmp_gt_u32_e64 s0, 17, v0
	s_delay_alu instid0(VALU_DEP_3) | instskip(NEXT) | instid1(VALU_DEP_3)
	v_lshrrev_b16 v11, 12, v5
	v_add_nc_u32_e32 v17, 0x400, v9
	s_delay_alu instid0(VALU_DEP_2) | instskip(SKIP_1) | instid1(VALU_DEP_2)
	v_mul_lo_u16 v5, v11, 17
	v_and_b32_e32 v11, 0xffff, v11
	v_sub_nc_u16 v5, v0, v5
	s_delay_alu instid0(VALU_DEP_2) | instskip(NEXT) | instid1(VALU_DEP_2)
	v_mul_u32_u24_e32 v11, 0x374, v11
	v_and_b32_e32 v10, 0xff, v5
	s_delay_alu instid0(VALU_DEP_1) | instskip(SKIP_1) | instid1(VALU_DEP_2)
	v_mul_u32_u24_e32 v5, 12, v10
	v_lshlrev_b32_e32 v10, 2, v10
	v_lshlrev_b32_e32 v5, 2, v5
	s_delay_alu instid0(VALU_DEP_2)
	v_add3_u32 v10, 0, v11, v10
	s_clause 0x2
	global_load_b128 v[24:27], v5, s[4:5]
	global_load_b128 v[33:36], v5, s[4:5] offset:16
	global_load_b128 v[37:40], v5, s[4:5] offset:32
	ds_load_2addr_b32 v[7:8], v9 offset1:51
	ds_load_2addr_b32 v[41:42], v9 offset0:204 offset1:255
	ds_load_b32 v20, v9 offset:2448
	v_add_nc_u32_e32 v5, 0x600, v9
	ds_load_2addr_b32 v[31:32], v9 offset0:102 offset1:153
	ds_load_2addr_b32 v[43:44], v17 offset0:50 offset1:101
	;; [unrolled: 1-line block ×4, first 2 shown]
	s_waitcnt vmcnt(0) lgkmcnt(0)
	s_barrier
	buffer_gl0_inv
	v_lshrrev_b32_e32 v50, 16, v8
	v_lshrrev_b32_e32 v13, 16, v42
	;; [unrolled: 1-line block ×25, first 2 shown]
	v_mul_f16_e32 v65, v5, v50
	v_mul_f16_e32 v66, v5, v8
	;; [unrolled: 1-line block ×24, first 2 shown]
	v_fma_f16 v64, v24, v8, -v65
	v_fmac_f16_e32 v66, v24, v50
	v_fma_f16 v50, v25, v31, -v67
	v_fma_f16 v31, v42, v33, -v72
	v_fmac_f16_e32 v29, v13, v33
	v_add_f16_e32 v33, v64, v7
	v_fmac_f16_e32 v68, v25, v51
	v_fma_f16 v51, v26, v32, -v69
	v_fmac_f16_e32 v70, v26, v52
	v_fma_f16 v32, v27, v41, -v71
	v_add_f16_e32 v33, v33, v50
	v_fma_f16 v26, v46, v37, -v60
	v_fmac_f16_e32 v30, v27, v53
	v_fma_f16 v8, v43, v34, -v73
	v_fmac_f16_e32 v5, v54, v34
	v_add_f16_e32 v33, v33, v51
	v_fma_f16 v27, v45, v36, -v75
	v_fma_f16 v25, v47, v38, -v61
	;; [unrolled: 1-line block ×3, first 2 shown]
	v_fmac_f16_e32 v14, v49, v40
	v_add_f16_e32 v34, v66, v28
	v_add_f16_e32 v47, v32, v26
	v_sub_f16_e32 v49, v32, v26
	v_add_f16_e32 v32, v33, v32
	v_fmac_f16_e32 v12, v55, v35
	v_fmac_f16_e32 v18, v57, v37
	;; [unrolled: 1-line block ×3, first 2 shown]
	v_fma_f16 v24, v48, v39, -v62
	v_fmac_f16_e32 v15, v59, v39
	v_sub_f16_e32 v37, v64, v20
	v_sub_f16_e32 v38, v66, v14
	v_add_f16_e32 v53, v31, v27
	v_sub_f16_e32 v55, v31, v27
	v_add_f16_e32 v34, v34, v68
	v_add_f16_e32 v31, v32, v31
	v_fma_f16 v13, v44, v35, -v74
	v_fmac_f16_e32 v19, v56, v36
	v_add_f16_e32 v35, v64, v20
	v_add_f16_e32 v36, v66, v14
	;; [unrolled: 1-line block ×3, first 2 shown]
	v_sub_f16_e32 v41, v50, v24
	v_sub_f16_e32 v42, v68, v15
	v_mul_f16_e32 v50, 0xb770, v38
	v_mul_f16_e32 v57, 0xb770, v37
	;; [unrolled: 1-line block ×5, first 2 shown]
	v_add_f16_e32 v34, v34, v70
	v_add_f16_e32 v31, v31, v8
	;; [unrolled: 1-line block ×5, first 2 shown]
	v_sub_f16_e32 v45, v51, v25
	v_sub_f16_e32 v46, v70, v16
	v_add_f16_e32 v48, v30, v18
	v_sub_f16_e32 v52, v30, v18
	v_mul_f16_e32 v60, 0xbbf1, v38
	v_mul_f16_e32 v62, 0xbb7b, v38
	;; [unrolled: 1-line block ×12, first 2 shown]
	v_fma_f16 v51, v35, 0x3b15, -v50
	v_fmamk_f16 v70, v36, 0x3b15, v57
	v_fma_f16 v57, v36, 0x3b15, -v57
	v_fma_f16 v107, v35, 0x388b, -v58
	v_fmamk_f16 v108, v36, 0x388b, v59
	v_fmac_f16_e32 v58, 0x388b, v35
	v_fma_f16 v59, v36, 0x388b, -v59
	v_fmamk_f16 v110, v36, 0x2fb7, v61
	v_fma_f16 v61, v36, 0x2fb7, -v61
	v_add_f16_e32 v30, v34, v30
	v_add_f16_e32 v31, v31, v13
	;; [unrolled: 1-line block ×3, first 2 shown]
	v_sub_f16_e32 v56, v29, v19
	v_mul_f16_e32 v71, 0xb3a8, v42
	v_mul_f16_e32 v73, 0x394e, v42
	;; [unrolled: 1-line block ×11, first 2 shown]
	v_fmac_f16_e32 v50, 0x3b15, v35
	v_fma_f16 v109, v35, 0x2fb7, -v60
	v_fmac_f16_e32 v60, 0x2fb7, v35
	v_fma_f16 v111, v35, 0xb5ac, -v62
	v_fmamk_f16 v112, v36, 0xb5ac, v63
	v_fmac_f16_e32 v62, 0xb5ac, v35
	v_fma_f16 v63, v36, 0xb5ac, -v63
	v_fma_f16 v113, v35, 0xb9fd, -v64
	v_fmamk_f16 v114, v36, 0xb9fd, v65
	v_fmac_f16_e32 v64, 0xb9fd, v35
	v_fma_f16 v65, v36, 0xb9fd, -v65
	;; [unrolled: 4-line block ×3, first 2 shown]
	v_fma_f16 v36, v39, 0x388b, -v66
	v_fmamk_f16 v37, v40, 0x388b, v67
	v_fma_f16 v67, v40, 0x388b, -v67
	v_fma_f16 v117, v39, 0xb5ac, -v68
	v_fmamk_f16 v118, v40, 0xb5ac, v69
	v_fmac_f16_e32 v68, 0xb5ac, v39
	v_fma_f16 v69, v40, 0xb5ac, -v69
	v_fmamk_f16 v120, v40, 0xbbc4, v72
	v_fma_f16 v72, v40, 0xbbc4, -v72
	v_add_f16_e32 v33, v51, v7
	v_add_f16_e32 v34, v70, v28
	;; [unrolled: 1-line block ×9, first 2 shown]
	v_mul_f16_e32 v79, 0xb3a8, v46
	v_mul_f16_e32 v81, 0x3b7b, v46
	;; [unrolled: 1-line block ×12, first 2 shown]
	v_fmac_f16_e32 v66, 0x388b, v39
	v_fma_f16 v119, v39, 0xbbc4, -v71
	v_fmac_f16_e32 v71, 0xbbc4, v39
	v_fma_f16 v121, v39, 0xb9fd, -v73
	v_fmamk_f16 v122, v40, 0xb9fd, v74
	v_fmac_f16_e32 v73, 0xb9fd, v39
	v_fma_f16 v74, v40, 0xb9fd, -v74
	v_fma_f16 v123, v39, 0x2fb7, -v75
	v_fmamk_f16 v124, v40, 0x2fb7, v76
	v_fmac_f16_e32 v75, 0x2fb7, v39
	v_fma_f16 v76, v40, 0x2fb7, -v76
	;; [unrolled: 4-line block ×3, first 2 shown]
	v_fma_f16 v40, v43, 0x2fb7, -v77
	v_fmamk_f16 v41, v44, 0x2fb7, v78
	v_fma_f16 v78, v44, 0x2fb7, -v78
	v_fma_f16 v128, 0xbbc4, v44, v80
	v_fma_f16 v80, v44, 0xbbc4, -v80
	v_fma_f16 v130, 0xb5ac, v44, v82
	v_fma_f16 v82, v44, 0xb5ac, -v82
	v_add_f16_e32 v50, v50, v7
	v_add_f16_e32 v57, v107, v7
	;; [unrolled: 1-line block ×22, first 2 shown]
	v_mul_f16_e32 v89, 0x394e, v52
	v_mul_f16_e32 v91, 0x3770, v52
	;; [unrolled: 1-line block ×12, first 2 shown]
	v_fmac_f16_e32 v77, 0x2fb7, v43
	v_fma_f16 v127, v43, 0xbbc4, -v79
	v_fmac_f16_e32 v79, 0xbbc4, v43
	v_fma_f16 v129, v43, 0xb5ac, -v81
	;; [unrolled: 2-line block ×3, first 2 shown]
	v_fma_f16 v132, 0x3b15, v44, v84
	v_fmac_f16_e32 v83, 0x3b15, v43
	v_fma_f16 v84, v44, 0x3b15, -v84
	v_fma_f16 v133, v43, 0x388b, -v85
	v_fma_f16 v134, 0x388b, v44, v86
	v_fmac_f16_e32 v85, 0x388b, v43
	v_fma_f16 v86, v44, 0x388b, -v86
	v_fma_f16 v135, v43, 0xb9fd, -v46
	;; [unrolled: 4-line block ×3, first 2 shown]
	v_fmamk_f16 v45, v48, 0xb5ac, v88
	v_fma_f16 v88, v48, 0xb5ac, -v88
	v_fma_f16 v138, 0xb9fd, v48, v90
	v_fma_f16 v90, v48, 0xb9fd, -v90
	v_fma_f16 v140, 0x3b15, v48, v92
	v_fma_f16 v92, v48, 0x3b15, -v92
	v_add_f16_e32 v112, v114, v28
	v_add_f16_e32 v65, v65, v28
	v_add_f16_e32 v114, v116, v28
	v_add_f16_e32 v28, v35, v28
	v_add_f16_e32 v33, v66, v50
	v_add_f16_e32 v35, v117, v57
	v_add_f16_e32 v50, v119, v107
	v_add_f16_e32 v51, v120, v108
	v_add_f16_e32 v57, v71, v60
	v_add_f16_e32 v59, v121, v109
	v_add_f16_e32 v60, v122, v110
	v_add_f16_e32 v61, v73, v62
	v_add_f16_e32 v62, v74, v63
	v_add_f16_e32 v63, v123, v111
	v_add_f16_e32 v67, v125, v113
	v_add_f16_e32 v7, v42, v7
	v_add_f16_e32 v30, v40, v30
	v_add_f16_e32 v32, v41, v32
	v_add_f16_e32 v34, v78, v34
	v_add_f16_e64 v36, v128, v36
	v_add_f16_e32 v38, v80, v38
	v_add_f16_e32 v42, v82, v58
	;; [unrolled: 1-line block ×4, first 2 shown]
	v_mul_f16_e32 v99, 0x3bf1, v56
	v_mul_f16_e32 v101, 0xba95, v56
	;; [unrolled: 1-line block ×6, first 2 shown]
	v_fmac_f16_e32 v87, 0xb5ac, v47
	v_fma_f16 v137, v47, 0xb9fd, -v89
	v_fmac_f16_e32 v89, 0xb9fd, v47
	v_fma_f16 v139, v47, 0x3b15, -v91
	;; [unrolled: 2-line block ×3, first 2 shown]
	v_fma_f16 v142, 0x2fb7, v48, v94
	v_fmac_f16_e32 v93, 0x2fb7, v47
	v_fma_f16 v94, v48, 0x2fb7, -v94
	v_fma_f16 v143, v47, 0xbbc4, -v95
	v_fma_f16 v144, 0xbbc4, v48, v96
	v_fmac_f16_e32 v95, 0xbbc4, v47
	v_fma_f16 v96, v48, 0xbbc4, -v96
	v_fma_f16 v145, v47, 0x388b, -v52
	v_fma_f16 v146, 0x388b, v48, v49
	v_fmac_f16_e32 v52, 0x388b, v47
	v_fma_f16 v47, v48, 0x388b, -v49
	v_fma_f16 v48, v53, 0xb9fd, -v97
	v_fmamk_f16 v49, v54, 0xb9fd, v98
	v_fma_f16 v98, v54, 0xb9fd, -v98
	v_fma_f16 v148, 0x2fb7, v54, v100
	v_fma_f16 v100, v54, 0x2fb7, -v100
	v_fma_f16 v150, 0x388b, v54, v102
	v_fma_f16 v102, v54, 0x388b, -v102
	v_add_f16_e32 v28, v39, v28
	v_add_f16_e32 v33, v77, v33
	;; [unrolled: 1-line block ×4, first 2 shown]
	v_add_f16_e64 v39, v129, v50
	v_add_f16_e64 v40, v130, v51
	v_add_f16_e32 v41, v81, v57
	v_add_f16_e64 v50, v131, v59
	v_add_f16_e64 v51, v132, v60
	v_add_f16_e32 v57, v83, v61
	;; [unrolled: 3-line block ×3, first 2 shown]
	v_add_f16_e32 v32, v45, v32
	v_add_f16_e32 v34, v88, v34
	v_add_f16_e64 v36, v138, v36
	v_add_f16_e32 v38, v90, v38
	v_add_f16_e32 v42, v92, v42
	;; [unrolled: 1-line block ×4, first 2 shown]
	v_fmac_f16_e32 v97, 0xb9fd, v53
	v_fma_f16 v147, v53, 0x2fb7, -v99
	v_fmac_f16_e32 v99, 0x2fb7, v53
	v_fma_f16 v149, v53, 0x388b, -v101
	v_fma_f16 v151, v53, 0xbbc4, -v103
	v_fma_f16 v152, 0xbbc4, v54, v104
	v_fmac_f16_e32 v103, 0xbbc4, v53
	v_add_f16_e32 v58, v84, v62
	v_add_f16_e32 v28, v43, v28
	;; [unrolled: 1-line block ×3, first 2 shown]
	v_add_f16_e64 v35, v137, v35
	v_add_f16_e32 v37, v89, v37
	v_add_f16_e64 v39, v139, v39
	v_add_f16_e64 v43, v141, v50
	;; [unrolled: 1-line block ×3, first 2 shown]
	v_add_f16_e32 v45, v93, v57
	v_add_f16_e64 v50, v143, v59
	v_add_f16_e64 v59, v145, v63
	v_add_f16_e32 v29, v48, v30
	v_add_f16_e32 v30, v49, v32
	;; [unrolled: 1-line block ×3, first 2 shown]
	v_add_f16_e64 v34, v148, v36
	v_add_f16_e32 v36, v100, v38
	v_add_f16_e32 v18, v19, v18
	v_add_f16_e32 v38, v102, v42
	v_add_f16_e32 v20, v24, v20
	v_fma_f16 v24, v53, 0xb5ac, -v56
	v_sub_f16_e32 v42, v5, v12
	v_mul_f16_e32 v106, 0x3770, v55
	v_mul_f16_e32 v55, 0xbb7b, v55
	v_fma_f16 v104, v54, 0xbbc4, -v104
	v_add_f16_e32 v7, v46, v7
	v_add_f16_e32 v46, v94, v58
	;; [unrolled: 1-line block ×3, first 2 shown]
	v_add_f16_e64 v33, v147, v35
	v_add_f16_e32 v35, v99, v37
	v_add_f16_e64 v37, v149, v39
	v_add_f16_e32 v16, v18, v16
	;; [unrolled: 2-line block ×3, first 2 shown]
	v_add_f16_e32 v44, v24, v59
	v_add_f16_e32 v45, v8, v13
	v_mul_f16_e32 v24, 0xb3a8, v42
	v_add_f16_e32 v28, v47, v28
	v_add_f16_e32 v15, v16, v15
	;; [unrolled: 1-line block ×3, first 2 shown]
	v_sub_f16_e32 v8, v8, v13
	v_fma_f16 v13, v54, 0xb5ac, -v55
	v_fma_f16 v46, v45, 0xbbc4, -v24
	v_add_f16_e32 v12, v5, v12
	v_fmac_f16_e32 v24, 0xbbc4, v45
	v_mul_f16_e32 v5, 0xb3a8, v8
	v_add_f16_e32 v13, v13, v28
	v_add_f16_e32 v28, v46, v29
	v_mul_f16_e32 v29, 0x3770, v42
	v_mul_f16_e32 v48, 0x3770, v8
	v_fmamk_f16 v46, v12, 0xbbc4, v5
	v_fma_f16 v47, v12, 0xbbc4, -v5
	v_add_f16_e32 v5, v24, v31
	v_fma_f16 v49, v45, 0x3b15, -v29
	v_fmamk_f16 v31, v12, 0x3b15, v48
	v_add_f16_e64 v40, v140, v40
	v_add_f16_e32 v30, v46, v30
	v_add_f16_e32 v24, v47, v32
	;; [unrolled: 1-line block ×3, first 2 shown]
	v_mul_f16_e32 v33, 0xb94e, v42
	v_fmac_f16_e32 v29, 0x3b15, v45
	v_fma_f16 v46, v12, 0x3b15, -v48
	v_add_f16_e32 v31, v31, v34
	v_mul_f16_e32 v34, 0xb94e, v8
	v_fmac_f16_e32 v101, 0x388b, v53
	v_add_f16_e32 v66, v124, v112
	v_add_f16_e32 v41, v91, v41
	v_add_f16_e64 v19, v150, v40
	v_fma_f16 v47, v45, 0xb9fd, -v33
	v_add_f16_e32 v29, v29, v35
	v_add_f16_e32 v35, v46, v36
	v_mul_f16_e32 v36, 0x3a95, v42
	v_fmamk_f16 v46, v12, 0xb9fd, v34
	v_add_f16_e32 v64, v75, v64
	v_add_f16_e32 v65, v76, v65
	v_add_f16_e64 v60, v134, v66
	v_add_f16_e32 v27, v101, v41
	v_add_f16_e64 v18, v151, v43
	v_add_f16_e32 v37, v47, v37
	v_fmac_f16_e32 v33, 0xb9fd, v45
	v_fma_f16 v34, v12, 0xb9fd, -v34
	v_fma_f16 v47, v45, 0x388b, -v36
	v_add_f16_e32 v19, v46, v19
	v_mul_f16_e32 v46, 0x3a95, v8
	v_add_f16_e32 v61, v85, v64
	v_fma_f16 v154, 0x3b15, v54, v106
	v_add_f16_e32 v68, v126, v114
	v_add_f16_e32 v62, v86, v65
	v_add_f16_e64 v51, v144, v60
	v_add_f16_e32 v27, v33, v27
	v_add_f16_e32 v33, v34, v38
	;; [unrolled: 1-line block ×3, first 2 shown]
	v_fmamk_f16 v38, v12, 0x388b, v46
	v_mul_f16_e32 v47, 0xbb7b, v8
	v_fma_f16 v153, v53, 0x3b15, -v105
	v_fmac_f16_e32 v105, 0x3b15, v53
	v_add_f16_e32 v57, v95, v61
	v_mul_f16_e32 v34, 0xbb7b, v42
	v_add_f16_e64 v64, v136, v68
	v_add_f16_e32 v58, v96, v62
	v_add_f16_e64 v40, v154, v51
	v_add_f16_e32 v14, v15, v14
	v_fma_f16 v15, v54, 0x3b15, -v106
	v_fmac_f16_e32 v36, 0x388b, v45
	v_add_f16_e32 v26, v38, v26
	v_fmamk_f16 v38, v12, 0xb5ac, v47
	v_add_f16_e32 v41, v105, v57
	v_fma_f16 v48, v45, 0xb5ac, -v34
	v_fmac_f16_e32 v34, 0xb5ac, v45
	v_mul_f16_e32 v8, 0x3bf1, v8
	v_add_f16_e64 v60, v146, v64
	v_add_f16_e32 v7, v52, v7
	v_fmamk_f16 v43, v54, 0xb5ac, v55
	v_add_f16_e32 v15, v15, v58
	v_fmac_f16_e32 v56, 0xb5ac, v53
	v_add_f16_e32 v36, v36, v39
	v_fma_f16 v39, v12, 0xb5ac, -v47
	v_add_f16_e32 v38, v38, v40
	v_mul_f16_e32 v40, 0x3bf1, v42
	v_add_f16_e64 v25, v153, v50
	v_add_f16_e32 v34, v34, v41
	v_fmamk_f16 v41, v12, 0x2fb7, v8
	v_fma_f16 v8, v12, 0x2fb7, -v8
	v_add_f16_e32 v43, v43, v60
	v_add_f16_e32 v7, v56, v7
	;; [unrolled: 1-line block ×3, first 2 shown]
	v_fma_f16 v39, v45, 0x2fb7, -v40
	v_fmac_f16_e32 v40, 0x2fb7, v45
	v_fma_f16 v46, v12, 0x388b, -v46
	v_add_f16_e32 v25, v48, v25
	v_add_f16_e32 v8, v8, v13
	v_pack_b32_f16 v11, v20, v14
	v_pack_b32_f16 v13, v28, v30
	v_add_f16_e32 v12, v39, v44
	v_add_f16_e32 v39, v41, v43
	;; [unrolled: 1-line block ×3, first 2 shown]
	v_pack_b32_f16 v14, v32, v31
	v_pack_b32_f16 v19, v37, v19
	v_add_f16_e32 v16, v46, v16
	ds_store_2addr_b32 v10, v11, v13 offset1:17
	ds_store_2addr_b32 v10, v14, v19 offset0:34 offset1:51
	v_pack_b32_f16 v11, v18, v26
	v_pack_b32_f16 v13, v25, v38
	;; [unrolled: 1-line block ×9, first 2 shown]
	ds_store_2addr_b32 v10, v11, v13 offset0:68 offset1:85
	ds_store_2addr_b32 v10, v12, v7 offset0:102 offset1:119
	ds_store_2addr_b32 v10, v8, v14 offset0:136 offset1:153
	ds_store_2addr_b32 v10, v15, v16 offset0:170 offset1:187
	ds_store_b32 v10, v18 offset:816
	v_add_nc_u32_e32 v10, 0x200, v9
	v_add_nc_u32_e32 v19, 0x800, v9
	s_waitcnt lgkmcnt(0)
	s_barrier
	buffer_gl0_inv
	ds_load_2addr_b32 v[7:8], v9 offset1:51
	ds_load_2addr_b32 v[11:12], v10 offset0:93 offset1:144
	ds_load_2addr_b32 v[13:14], v17 offset0:186 offset1:237
	ds_load_2addr_b32 v[15:16], v9 offset0:102 offset1:153
	ds_load_2addr_b32 v[17:18], v17 offset0:67 offset1:118
	ds_load_2addr_b32 v[19:20], v19 offset0:32 offset1:83
	s_and_saveexec_b32 s1, s0
	s_cbranch_execz .LBB0_15
; %bb.14:
	v_add_nc_u32_e32 v5, 0x300, v9
	ds_load_2addr_b32 v[5:6], v5 offset0:12 offset1:233
	ds_load_b32 v21, v9 offset:2584
	s_waitcnt lgkmcnt(1)
	v_lshrrev_b32_e32 v24, 16, v5
	v_lshrrev_b32_e32 v23, 16, v6
	s_waitcnt lgkmcnt(0)
	v_lshrrev_b32_e32 v22, 16, v21
.LBB0_15:
	s_or_b32 exec_lo, exec_lo, s1
	s_and_saveexec_b32 s1, vcc_lo
	s_cbranch_execz .LBB0_18
; %bb.16:
	v_add_nc_u32_e32 v49, 0x1ba, v0
	v_add_nc_u32_e32 v48, 0xdd, v0
	v_add_nc_u32_e32 v50, 51, v0
	v_add_nc_u32_e32 v51, 0x110, v0
	v_add_nc_u32_e32 v54, 0x1ed, v0
	v_mad_u64_u32 v[37:38], null, s12, v49, 0
	v_add_nc_u32_e32 v52, 0x99, v0
	v_mov_b32_e32 v10, 0
	v_mad_u64_u32 v[35:36], null, s12, v48, 0
	v_add_nc_u32_e32 v53, 0x66, v0
	s_delay_alu instid0(VALU_DEP_4) | instskip(SKIP_2) | instid1(VALU_DEP_3)
	v_lshlrev_b32_e32 v9, 1, v52
	v_mad_u64_u32 v[39:40], null, s12, v50, 0
	v_mad_u64_u32 v[41:42], null, s12, v51, 0
	v_lshlrev_b64 v[25:26], 2, v[9:10]
	v_lshlrev_b32_e32 v9, 1, v53
	v_mad_u64_u32 v[43:44], null, s12, v54, 0
	v_mul_lo_u32 v45, s2, v4
	v_mad_u64_u32 v[33:34], null, s2, v3, 0
	s_delay_alu instid0(VALU_DEP_4) | instskip(SKIP_3) | instid1(VALU_DEP_3)
	v_lshlrev_b64 v[27:28], 2, v[9:10]
	v_lshlrev_b32_e32 v9, 1, v50
	v_add_co_u32 v25, vcc_lo, s4, v25
	v_add_co_ci_u32_e32 v26, vcc_lo, s5, v26, vcc_lo
	v_lshlrev_b64 v[29:30], 2, v[9:10]
	v_lshlrev_b32_e32 v9, 1, v0
	v_add_co_u32 v27, vcc_lo, s4, v27
	global_load_b64 v[25:26], v[25:26], off offset:816
	v_add_co_ci_u32_e32 v28, vcc_lo, s5, v28, vcc_lo
	v_lshlrev_b64 v[31:32], 2, v[9:10]
	v_add_co_u32 v29, vcc_lo, s4, v29
	global_load_b64 v[27:28], v[27:28], off offset:816
	v_add_co_ci_u32_e32 v30, vcc_lo, s5, v30, vcc_lo
	v_add_co_u32 v31, vcc_lo, s4, v31
	v_add_co_ci_u32_e32 v32, vcc_lo, s5, v32, vcc_lo
	global_load_b64 v[29:30], v[29:30], off offset:816
	v_mul_lo_u32 v9, s3, v3
	v_mad_u64_u32 v[3:4], null, s12, v0, 0
	global_load_b64 v[31:32], v[31:32], off offset:816
	v_lshlrev_b64 v[1:2], 2, v[1:2]
	s_waitcnt lgkmcnt(0)
	v_lshrrev_b32_e32 v66, 16, v20
	v_lshrrev_b32_e32 v67, 16, v18
	;; [unrolled: 1-line block ×3, first 2 shown]
	v_add3_u32 v34, v34, v45, v9
	v_mov_b32_e32 v9, v38
	v_mul_hi_u32 v56, 0x288b0129, v52
	v_mad_u64_u32 v[45:46], null, s13, v0, v[4:5]
	v_mov_b32_e32 v4, v36
	v_mul_hi_u32 v55, 0x288b0129, v53
	v_mov_b32_e32 v36, v40
	v_mov_b32_e32 v40, v44
	;; [unrolled: 1-line block ×3, first 2 shown]
	v_sub_nc_u32_e32 v44, v52, v56
	v_mad_u64_u32 v[46:47], null, s13, v48, v[4:5]
	v_mov_b32_e32 v4, v45
	v_sub_nc_u32_e32 v42, v53, v55
	v_mad_u64_u32 v[47:48], null, s13, v49, v[9:10]
	v_mad_u64_u32 v[48:49], null, s13, v50, v[36:37]
	v_lshrrev_b32_e32 v36, 1, v44
	s_delay_alu instid0(VALU_DEP_4)
	v_lshrrev_b32_e32 v9, 1, v42
	v_lshlrev_b64 v[33:34], 2, v[33:34]
	v_lshrrev_b32_e32 v69, 16, v19
	v_lshlrev_b64 v[3:4], 2, v[3:4]
	v_dual_mov_b32 v36, v46 :: v_dual_add_nc_u32 v45, v36, v56
	v_mad_u64_u32 v[49:50], null, s13, v51, v[38:39]
	v_dual_mov_b32 v38, v47 :: v_dual_add_nc_u32 v9, v9, v55
	v_mad_u64_u32 v[50:51], null, s13, v54, v[40:41]
	v_add_co_u32 v33, vcc_lo, s10, v33
	s_delay_alu instid0(VALU_DEP_4) | instskip(NEXT) | instid1(VALU_DEP_4)
	v_mov_b32_e32 v42, v49
	v_lshrrev_b32_e32 v9, 7, v9
	v_lshrrev_b32_e32 v45, 7, v45
	v_add_co_ci_u32_e32 v34, vcc_lo, s11, v34, vcc_lo
	v_add_co_u32 v1, vcc_lo, v33, v1
	s_delay_alu instid0(VALU_DEP_4)
	v_mad_u32_u24 v57, 0x1ba, v9, v53
	v_mov_b32_e32 v40, v48
	v_mad_u32_u24 v58, 0x1ba, v45, v52
	v_mov_b32_e32 v44, v50
	v_add_co_ci_u32_e32 v2, vcc_lo, v34, v2, vcc_lo
	v_lshlrev_b64 v[33:34], 2, v[35:36]
	s_delay_alu instid0(VALU_DEP_4)
	v_add_nc_u32_e32 v61, 0xdd, v58
	v_lshlrev_b64 v[35:36], 2, v[37:38]
	v_add_nc_u32_e32 v59, 0xdd, v57
	v_lshlrev_b64 v[37:38], 2, v[39:40]
	v_lshlrev_b64 v[39:40], 2, v[41:42]
	;; [unrolled: 1-line block ×3, first 2 shown]
	v_mad_u64_u32 v[43:44], null, s12, v57, 0
	v_add_nc_u32_e32 v60, 0x1ba, v57
	v_mad_u64_u32 v[45:46], null, s12, v58, 0
	v_mad_u64_u32 v[47:48], null, s12, v59, 0
	s_delay_alu instid0(VALU_DEP_3)
	v_mad_u64_u32 v[49:50], null, s12, v60, 0
	v_mad_u64_u32 v[51:52], null, s12, v61, 0
	v_dual_mov_b32 v9, v44 :: v_dual_add_nc_u32 v74, 0x1ba, v58
	v_mov_b32_e32 v44, v46
	v_lshrrev_b32_e32 v70, 16, v12
	v_mov_b32_e32 v46, v50
	s_delay_alu instid0(VALU_DEP_4) | instskip(SKIP_4) | instid1(VALU_DEP_4)
	v_mad_u64_u32 v[55:56], null, s13, v57, v[9:10]
	v_mov_b32_e32 v9, v48
	v_mad_u64_u32 v[53:54], null, s12, v74, 0
	v_mad_u64_u32 v[56:57], null, s13, v58, v[44:45]
	v_mov_b32_e32 v44, v52
	v_mad_u64_u32 v[57:58], null, s13, v59, v[9:10]
	v_mad_u64_u32 v[58:59], null, s13, v60, v[46:47]
	s_delay_alu instid0(VALU_DEP_3)
	v_mad_u64_u32 v[59:60], null, s13, v61, v[44:45]
	v_mov_b32_e32 v48, v54
	v_mov_b32_e32 v44, v55
	;; [unrolled: 1-line block ×3, first 2 shown]
	v_lshrrev_b32_e32 v71, 16, v14
	v_mov_b32_e32 v50, v58
	v_mad_u64_u32 v[60:61], null, s13, v74, v[48:49]
	v_mov_b32_e32 v48, v57
	v_mov_b32_e32 v52, v59
	v_lshrrev_b32_e32 v65, 16, v16
	v_add_co_u32 v3, vcc_lo, v1, v3
	v_lshrrev_b32_e32 v64, 16, v15
	v_lshrrev_b32_e32 v72, 16, v11
	;; [unrolled: 1-line block ×3, first 2 shown]
	v_add_co_ci_u32_e32 v4, vcc_lo, v2, v4, vcc_lo
	v_add_co_u32 v33, vcc_lo, v1, v33
	v_add_co_ci_u32_e32 v34, vcc_lo, v2, v34, vcc_lo
	v_mov_b32_e32 v54, v60
	v_lshrrev_b32_e32 v63, 16, v8
	v_add_co_u32 v35, vcc_lo, v1, v35
	v_add_co_ci_u32_e32 v36, vcc_lo, v2, v36, vcc_lo
	v_add_co_u32 v37, vcc_lo, v1, v37
	v_add_co_ci_u32_e32 v38, vcc_lo, v2, v38, vcc_lo
	v_add_co_u32 v39, vcc_lo, v1, v39
	v_lshlrev_b64 v[43:44], 2, v[43:44]
	v_add_co_ci_u32_e32 v40, vcc_lo, v2, v40, vcc_lo
	v_lshrrev_b32_e32 v62, 16, v7
	v_add_co_u32 v41, vcc_lo, v1, v41
	v_lshlrev_b64 v[45:46], 2, v[45:46]
	v_add_co_ci_u32_e32 v42, vcc_lo, v2, v42, vcc_lo
	v_lshlrev_b64 v[47:48], 2, v[47:48]
	v_add_co_u32 v43, vcc_lo, v1, v43
	v_add_co_ci_u32_e32 v44, vcc_lo, v2, v44, vcc_lo
	v_lshlrev_b64 v[49:50], 2, v[49:50]
	v_add_co_u32 v45, vcc_lo, v1, v45
	;; [unrolled: 3-line block ×4, first 2 shown]
	v_add_co_ci_u32_e32 v50, vcc_lo, v2, v50, vcc_lo
	v_add_co_u32 v51, vcc_lo, v1, v51
	v_add_co_ci_u32_e32 v52, vcc_lo, v2, v52, vcc_lo
	v_add_co_u32 v53, vcc_lo, v1, v53
	v_add_co_ci_u32_e32 v54, vcc_lo, v2, v54, vcc_lo
	s_waitcnt vmcnt(3)
	v_lshrrev_b32_e32 v9, 16, v25
	v_lshrrev_b32_e32 v55, 16, v26
	s_delay_alu instid0(VALU_DEP_2) | instskip(NEXT) | instid1(VALU_DEP_2)
	v_mul_f16_e32 v56, v9, v67
	v_mul_f16_e32 v57, v66, v55
	;; [unrolled: 1-line block ×4, first 2 shown]
	s_waitcnt vmcnt(2)
	v_lshrrev_b32_e32 v58, 16, v27
	v_lshrrev_b32_e32 v59, 16, v28
	v_fma_f16 v18, v25, v18, -v56
	v_fma_f16 v20, v20, v26, -v57
	v_fmac_f16_e32 v9, v25, v67
	v_fmac_f16_e32 v55, v66, v26
	v_mul_f16_e32 v25, v58, v68
	v_mul_f16_e32 v26, v59, v69
	;; [unrolled: 1-line block ×4, first 2 shown]
	s_waitcnt vmcnt(1)
	v_lshrrev_b32_e32 v58, 16, v29
	v_lshrrev_b32_e32 v59, 16, v30
	v_add_f16_e32 v61, v9, v55
	v_add_f16_e32 v67, v18, v20
	v_fma_f16 v17, v27, v17, -v25
	v_fma_f16 v19, v28, v19, -v26
	v_fmac_f16_e32 v56, v27, v68
	v_fmac_f16_e32 v57, v28, v69
	v_mul_f16_e32 v25, v58, v70
	v_mul_f16_e32 v26, v59, v71
	;; [unrolled: 1-line block ×4, first 2 shown]
	s_waitcnt vmcnt(0)
	v_lshrrev_b32_e32 v58, 16, v31
	v_lshrrev_b32_e32 v59, 16, v32
	v_sub_f16_e32 v60, v18, v20
	v_add_f16_e32 v66, v65, v9
	v_add_f16_e32 v18, v16, v18
	v_sub_f16_e32 v9, v9, v55
	v_fma_f16 v61, -0.5, v61, v65
	v_fma_f16 v16, -0.5, v67, v16
	v_add_f16_e32 v65, v56, v57
	v_sub_f16_e32 v67, v56, v57
	v_add_f16_e32 v56, v64, v56
	v_fma_f16 v12, v29, v12, -v25
	v_fma_f16 v14, v30, v14, -v26
	v_fmac_f16_e32 v27, v29, v70
	v_fmac_f16_e32 v28, v30, v71
	v_mul_f16_e32 v25, v58, v72
	v_mul_f16_e32 v26, v59, v73
	;; [unrolled: 1-line block ×4, first 2 shown]
	v_add_f16_e32 v55, v66, v55
	v_add_f16_e32 v18, v18, v20
	v_sub_f16_e32 v20, v17, v19
	v_add_f16_e32 v66, v17, v19
	v_add_f16_e32 v17, v15, v17
	v_fmamk_f16 v59, v9, 0xbaee, v16
	v_fmac_f16_e32 v16, 0x3aee, v9
	v_fma_f16 v9, -0.5, v65, v64
	v_add_f16_e32 v56, v56, v57
	v_add_f16_e32 v57, v27, v28
	v_sub_f16_e32 v64, v27, v28
	v_add_f16_e32 v27, v63, v27
	v_fma_f16 v11, v31, v11, -v25
	v_fma_f16 v13, v32, v13, -v26
	v_fmac_f16_e32 v29, v31, v72
	v_fmac_f16_e32 v30, v32, v73
	v_fmamk_f16 v58, v60, 0x3aee, v61
	v_fmac_f16_e32 v61, 0xbaee, v60
	v_add_f16_e32 v17, v17, v19
	v_sub_f16_e32 v19, v12, v14
	v_add_f16_e32 v60, v12, v14
	v_add_f16_e32 v12, v8, v12
	v_fmamk_f16 v25, v20, 0x3aee, v9
	v_fmac_f16_e32 v9, 0xbaee, v20
	v_fma_f16 v20, -0.5, v57, v63
	v_add_f16_e32 v27, v27, v28
	v_add_f16_e32 v28, v29, v30
	;; [unrolled: 1-line block ×4, first 2 shown]
	v_sub_f16_e32 v14, v11, v13
	v_sub_f16_e32 v32, v29, v30
	v_add_f16_e32 v29, v62, v29
	v_add_f16_e32 v11, v7, v11
	v_pack_b32_f16 v17, v17, v56
	v_fmamk_f16 v56, v19, 0x3aee, v20
	v_fmac_f16_e32 v20, 0xbaee, v19
	v_fma_f16 v19, -0.5, v28, v62
	v_fma_f16 v7, -0.5, v31, v7
	;; [unrolled: 1-line block ×4, first 2 shown]
	v_add_f16_e32 v28, v29, v30
	v_add_f16_e32 v11, v11, v13
	v_fmamk_f16 v13, v14, 0x3aee, v19
	v_fmamk_f16 v29, v32, 0xbaee, v7
	v_fmac_f16_e32 v19, 0xbaee, v14
	v_fmac_f16_e32 v7, 0x3aee, v32
	v_fmamk_f16 v57, v64, 0xbaee, v8
	v_fmac_f16_e32 v8, 0x3aee, v64
	v_fmamk_f16 v26, v67, 0xbaee, v15
	v_fmac_f16_e32 v15, 0x3aee, v67
	v_pack_b32_f16 v11, v11, v28
	v_pack_b32_f16 v7, v7, v19
	;; [unrolled: 1-line block ×11, first 2 shown]
	s_clause 0xb
	global_store_b32 v[3:4], v11, off
	global_store_b32 v[33:34], v7, off
	;; [unrolled: 1-line block ×12, first 2 shown]
	s_and_b32 exec_lo, exec_lo, s0
	s_cbranch_execz .LBB0_18
; %bb.17:
	v_add_nc_u32_e32 v14, 0xcc, v0
	v_subrev_nc_u32_e32 v3, 17, v0
	v_add_nc_u32_e32 v15, 0x1a9, v0
	v_add_nc_u32_e32 v16, 0x286, v0
	s_delay_alu instid0(VALU_DEP_4) | instskip(NEXT) | instid1(VALU_DEP_4)
	v_mad_u64_u32 v[7:8], null, s12, v14, 0
	v_cndmask_b32_e64 v3, v3, v14, s0
	s_delay_alu instid0(VALU_DEP_3) | instskip(NEXT) | instid1(VALU_DEP_2)
	v_mad_u64_u32 v[11:12], null, s12, v16, 0
	v_dual_mov_b32 v0, v8 :: v_dual_lshlrev_b32 v9, 1, v3
	s_delay_alu instid0(VALU_DEP_1) | instskip(SKIP_1) | instid1(VALU_DEP_2)
	v_lshlrev_b64 v[3:4], 2, v[9:10]
	v_mad_u64_u32 v[9:10], null, s12, v15, 0
	v_add_co_u32 v3, vcc_lo, s4, v3
	s_delay_alu instid0(VALU_DEP_3) | instskip(NEXT) | instid1(VALU_DEP_3)
	v_add_co_ci_u32_e32 v4, vcc_lo, s5, v4, vcc_lo
	v_mov_b32_e32 v8, v10
	v_mov_b32_e32 v10, v12
	v_mad_u64_u32 v[12:13], null, s13, v14, v[0:1]
	global_load_b64 v[3:4], v[3:4], off offset:816
	v_mad_u64_u32 v[13:14], null, s13, v15, v[8:9]
	v_mad_u64_u32 v[14:15], null, s13, v16, v[10:11]
	v_mov_b32_e32 v8, v12
	s_delay_alu instid0(VALU_DEP_3) | instskip(NEXT) | instid1(VALU_DEP_3)
	v_mov_b32_e32 v10, v13
	v_mov_b32_e32 v12, v14
	s_delay_alu instid0(VALU_DEP_3) | instskip(NEXT) | instid1(VALU_DEP_3)
	v_lshlrev_b64 v[7:8], 2, v[7:8]
	v_lshlrev_b64 v[9:10], 2, v[9:10]
	s_delay_alu instid0(VALU_DEP_3) | instskip(NEXT) | instid1(VALU_DEP_3)
	v_lshlrev_b64 v[11:12], 2, v[11:12]
	v_add_co_u32 v7, vcc_lo, v1, v7
	s_delay_alu instid0(VALU_DEP_4) | instskip(SKIP_3) | instid1(VALU_DEP_2)
	v_add_co_ci_u32_e32 v8, vcc_lo, v2, v8, vcc_lo
	s_waitcnt vmcnt(0)
	v_lshrrev_b32_e32 v0, 16, v3
	v_lshrrev_b32_e32 v13, 16, v4
	v_mul_f16_e32 v14, v23, v0
	v_mul_f16_e32 v0, v6, v0
	s_delay_alu instid0(VALU_DEP_3) | instskip(SKIP_1) | instid1(VALU_DEP_4)
	v_mul_f16_e32 v15, v22, v13
	v_mul_f16_e32 v13, v21, v13
	v_fma_f16 v6, v6, v3, -v14
	s_delay_alu instid0(VALU_DEP_4) | instskip(NEXT) | instid1(VALU_DEP_4)
	v_fmac_f16_e32 v0, v23, v3
	v_fma_f16 v14, v21, v4, -v15
	s_delay_alu instid0(VALU_DEP_4) | instskip(SKIP_2) | instid1(VALU_DEP_4)
	v_fmac_f16_e32 v13, v22, v4
	v_add_co_u32 v3, vcc_lo, v1, v9
	v_add_co_ci_u32_e32 v4, vcc_lo, v2, v10, vcc_lo
	v_add_f16_e32 v9, v6, v14
	s_delay_alu instid0(VALU_DEP_4)
	v_add_f16_e32 v15, v0, v13
	v_add_f16_e32 v10, v5, v6
	v_sub_f16_e32 v16, v0, v13
	v_add_f16_e32 v0, v24, v0
	v_fmac_f16_e32 v5, -0.5, v9
	v_sub_f16_e32 v6, v6, v14
	v_fmac_f16_e32 v24, -0.5, v15
	v_add_f16_e32 v9, v10, v14
	v_add_f16_e32 v10, v0, v13
	v_fmamk_f16 v13, v16, 0x3aee, v5
	v_fmac_f16_e32 v5, 0xbaee, v16
	v_fmamk_f16 v14, v6, 0xbaee, v24
	v_fmac_f16_e32 v24, 0x3aee, v6
	v_add_co_u32 v0, vcc_lo, v1, v11
	v_add_co_ci_u32_e32 v1, vcc_lo, v2, v12, vcc_lo
	v_pack_b32_f16 v2, v9, v10
	v_pack_b32_f16 v6, v13, v14
	v_pack_b32_f16 v5, v5, v24
	s_clause 0x2
	global_store_b32 v[7:8], v2, off
	global_store_b32 v[3:4], v6, off
	global_store_b32 v[0:1], v5, off
.LBB0_18:
	s_nop 0
	s_sendmsg sendmsg(MSG_DEALLOC_VGPRS)
	s_endpgm
	.section	.rodata,"a",@progbits
	.p2align	6, 0x0
	.amdhsa_kernel fft_rtc_fwd_len663_factors_17_13_3_wgs_51_tpt_51_half_op_CI_CI_sbrr_dirReg
		.amdhsa_group_segment_fixed_size 0
		.amdhsa_private_segment_fixed_size 0
		.amdhsa_kernarg_size 104
		.amdhsa_user_sgpr_count 15
		.amdhsa_user_sgpr_dispatch_ptr 0
		.amdhsa_user_sgpr_queue_ptr 0
		.amdhsa_user_sgpr_kernarg_segment_ptr 1
		.amdhsa_user_sgpr_dispatch_id 0
		.amdhsa_user_sgpr_private_segment_size 0
		.amdhsa_wavefront_size32 1
		.amdhsa_uses_dynamic_stack 0
		.amdhsa_enable_private_segment 0
		.amdhsa_system_sgpr_workgroup_id_x 1
		.amdhsa_system_sgpr_workgroup_id_y 0
		.amdhsa_system_sgpr_workgroup_id_z 0
		.amdhsa_system_sgpr_workgroup_info 0
		.amdhsa_system_vgpr_workitem_id 0
		.amdhsa_next_free_vgpr 184
		.amdhsa_next_free_sgpr 31
		.amdhsa_reserve_vcc 1
		.amdhsa_float_round_mode_32 0
		.amdhsa_float_round_mode_16_64 0
		.amdhsa_float_denorm_mode_32 3
		.amdhsa_float_denorm_mode_16_64 3
		.amdhsa_dx10_clamp 1
		.amdhsa_ieee_mode 1
		.amdhsa_fp16_overflow 0
		.amdhsa_workgroup_processor_mode 1
		.amdhsa_memory_ordered 1
		.amdhsa_forward_progress 0
		.amdhsa_shared_vgpr_count 0
		.amdhsa_exception_fp_ieee_invalid_op 0
		.amdhsa_exception_fp_denorm_src 0
		.amdhsa_exception_fp_ieee_div_zero 0
		.amdhsa_exception_fp_ieee_overflow 0
		.amdhsa_exception_fp_ieee_underflow 0
		.amdhsa_exception_fp_ieee_inexact 0
		.amdhsa_exception_int_div_zero 0
	.end_amdhsa_kernel
	.text
.Lfunc_end0:
	.size	fft_rtc_fwd_len663_factors_17_13_3_wgs_51_tpt_51_half_op_CI_CI_sbrr_dirReg, .Lfunc_end0-fft_rtc_fwd_len663_factors_17_13_3_wgs_51_tpt_51_half_op_CI_CI_sbrr_dirReg
                                        ; -- End function
	.section	.AMDGPU.csdata,"",@progbits
; Kernel info:
; codeLenInByte = 14988
; NumSgprs: 33
; NumVgprs: 184
; ScratchSize: 0
; MemoryBound: 0
; FloatMode: 240
; IeeeMode: 1
; LDSByteSize: 0 bytes/workgroup (compile time only)
; SGPRBlocks: 4
; VGPRBlocks: 22
; NumSGPRsForWavesPerEU: 33
; NumVGPRsForWavesPerEU: 184
; Occupancy: 8
; WaveLimiterHint : 1
; COMPUTE_PGM_RSRC2:SCRATCH_EN: 0
; COMPUTE_PGM_RSRC2:USER_SGPR: 15
; COMPUTE_PGM_RSRC2:TRAP_HANDLER: 0
; COMPUTE_PGM_RSRC2:TGID_X_EN: 1
; COMPUTE_PGM_RSRC2:TGID_Y_EN: 0
; COMPUTE_PGM_RSRC2:TGID_Z_EN: 0
; COMPUTE_PGM_RSRC2:TIDIG_COMP_CNT: 0
	.text
	.p2alignl 7, 3214868480
	.fill 96, 4, 3214868480
	.type	__hip_cuid_77fb2b67ddb04f88,@object ; @__hip_cuid_77fb2b67ddb04f88
	.section	.bss,"aw",@nobits
	.globl	__hip_cuid_77fb2b67ddb04f88
__hip_cuid_77fb2b67ddb04f88:
	.byte	0                               ; 0x0
	.size	__hip_cuid_77fb2b67ddb04f88, 1

	.ident	"AMD clang version 19.0.0git (https://github.com/RadeonOpenCompute/llvm-project roc-6.4.0 25133 c7fe45cf4b819c5991fe208aaa96edf142730f1d)"
	.section	".note.GNU-stack","",@progbits
	.addrsig
	.addrsig_sym __hip_cuid_77fb2b67ddb04f88
	.amdgpu_metadata
---
amdhsa.kernels:
  - .args:
      - .actual_access:  read_only
        .address_space:  global
        .offset:         0
        .size:           8
        .value_kind:     global_buffer
      - .offset:         8
        .size:           8
        .value_kind:     by_value
      - .actual_access:  read_only
        .address_space:  global
        .offset:         16
        .size:           8
        .value_kind:     global_buffer
      - .actual_access:  read_only
        .address_space:  global
        .offset:         24
        .size:           8
        .value_kind:     global_buffer
      - .actual_access:  read_only
        .address_space:  global
        .offset:         32
        .size:           8
        .value_kind:     global_buffer
      - .offset:         40
        .size:           8
        .value_kind:     by_value
      - .actual_access:  read_only
        .address_space:  global
        .offset:         48
        .size:           8
        .value_kind:     global_buffer
      - .actual_access:  read_only
        .address_space:  global
        .offset:         56
        .size:           8
        .value_kind:     global_buffer
      - .offset:         64
        .size:           4
        .value_kind:     by_value
      - .actual_access:  read_only
        .address_space:  global
        .offset:         72
        .size:           8
        .value_kind:     global_buffer
      - .actual_access:  read_only
        .address_space:  global
        .offset:         80
        .size:           8
        .value_kind:     global_buffer
      - .actual_access:  read_only
        .address_space:  global
        .offset:         88
        .size:           8
        .value_kind:     global_buffer
      - .actual_access:  write_only
        .address_space:  global
        .offset:         96
        .size:           8
        .value_kind:     global_buffer
    .group_segment_fixed_size: 0
    .kernarg_segment_align: 8
    .kernarg_segment_size: 104
    .language:       OpenCL C
    .language_version:
      - 2
      - 0
    .max_flat_workgroup_size: 51
    .name:           fft_rtc_fwd_len663_factors_17_13_3_wgs_51_tpt_51_half_op_CI_CI_sbrr_dirReg
    .private_segment_fixed_size: 0
    .sgpr_count:     33
    .sgpr_spill_count: 0
    .symbol:         fft_rtc_fwd_len663_factors_17_13_3_wgs_51_tpt_51_half_op_CI_CI_sbrr_dirReg.kd
    .uniform_work_group_size: 1
    .uses_dynamic_stack: false
    .vgpr_count:     184
    .vgpr_spill_count: 0
    .wavefront_size: 32
    .workgroup_processor_mode: 1
amdhsa.target:   amdgcn-amd-amdhsa--gfx1100
amdhsa.version:
  - 1
  - 2
...

	.end_amdgpu_metadata
